;; amdgpu-corpus repo=ROCm/rocFFT kind=compiled arch=gfx1201 opt=O3
	.text
	.amdgcn_target "amdgcn-amd-amdhsa--gfx1201"
	.amdhsa_code_object_version 6
	.protected	fft_rtc_fwd_len2160_factors_10_6_6_6_wgs_60_tpt_60_halfLds_half_op_CI_CI_unitstride_sbrr_C2R_dirReg ; -- Begin function fft_rtc_fwd_len2160_factors_10_6_6_6_wgs_60_tpt_60_halfLds_half_op_CI_CI_unitstride_sbrr_C2R_dirReg
	.globl	fft_rtc_fwd_len2160_factors_10_6_6_6_wgs_60_tpt_60_halfLds_half_op_CI_CI_unitstride_sbrr_C2R_dirReg
	.p2align	8
	.type	fft_rtc_fwd_len2160_factors_10_6_6_6_wgs_60_tpt_60_halfLds_half_op_CI_CI_unitstride_sbrr_C2R_dirReg,@function
fft_rtc_fwd_len2160_factors_10_6_6_6_wgs_60_tpt_60_halfLds_half_op_CI_CI_unitstride_sbrr_C2R_dirReg: ; @fft_rtc_fwd_len2160_factors_10_6_6_6_wgs_60_tpt_60_halfLds_half_op_CI_CI_unitstride_sbrr_C2R_dirReg
; %bb.0:
	s_clause 0x2
	s_load_b128 s[8:11], s[0:1], 0x0
	s_load_b128 s[4:7], s[0:1], 0x58
	;; [unrolled: 1-line block ×3, first 2 shown]
	v_mul_u32_u24_e32 v1, 0x445, v0
	v_mov_b32_e32 v7, 0
	v_mov_b32_e32 v8, 0
	s_delay_alu instid0(VALU_DEP_3) | instskip(SKIP_1) | instid1(VALU_DEP_1)
	v_lshrrev_b32_e32 v2, 16, v1
	v_mov_b32_e32 v1, 0
	v_dual_mov_b32 v10, v1 :: v_dual_add_nc_u32 v9, ttmp9, v2
	s_wait_kmcnt 0x0
	v_cmp_lt_u64_e64 s2, s[10:11], 2
	s_delay_alu instid0(VALU_DEP_1)
	s_and_b32 vcc_lo, exec_lo, s2
	s_cbranch_vccnz .LBB0_8
; %bb.1:
	s_load_b64 s[2:3], s[0:1], 0x10
	v_mov_b32_e32 v7, 0
	v_mov_b32_e32 v8, 0
	s_delay_alu instid0(VALU_DEP_2)
	v_mov_b32_e32 v3, v7
	s_add_nc_u64 s[16:17], s[14:15], 8
	s_add_nc_u64 s[18:19], s[12:13], 8
	s_mov_b64 s[20:21], 1
	v_mov_b32_e32 v4, v8
	s_wait_kmcnt 0x0
	s_add_nc_u64 s[22:23], s[2:3], 8
	s_mov_b32 s3, 0
.LBB0_2:                                ; =>This Inner Loop Header: Depth=1
	s_load_b64 s[24:25], s[22:23], 0x0
                                        ; implicit-def: $vgpr5_vgpr6
	s_mov_b32 s2, exec_lo
	s_wait_kmcnt 0x0
	v_or_b32_e32 v2, s25, v10
	s_delay_alu instid0(VALU_DEP_1)
	v_cmpx_ne_u64_e32 0, v[1:2]
	s_wait_alu 0xfffe
	s_xor_b32 s26, exec_lo, s2
	s_cbranch_execz .LBB0_4
; %bb.3:                                ;   in Loop: Header=BB0_2 Depth=1
	s_cvt_f32_u32 s2, s24
	s_cvt_f32_u32 s27, s25
	s_sub_nc_u64 s[30:31], 0, s[24:25]
	s_wait_alu 0xfffe
	s_delay_alu instid0(SALU_CYCLE_1) | instskip(SKIP_1) | instid1(SALU_CYCLE_2)
	s_fmamk_f32 s2, s27, 0x4f800000, s2
	s_wait_alu 0xfffe
	v_s_rcp_f32 s2, s2
	s_delay_alu instid0(TRANS32_DEP_1) | instskip(SKIP_1) | instid1(SALU_CYCLE_2)
	s_mul_f32 s2, s2, 0x5f7ffffc
	s_wait_alu 0xfffe
	s_mul_f32 s27, s2, 0x2f800000
	s_wait_alu 0xfffe
	s_delay_alu instid0(SALU_CYCLE_2) | instskip(SKIP_1) | instid1(SALU_CYCLE_2)
	s_trunc_f32 s27, s27
	s_wait_alu 0xfffe
	s_fmamk_f32 s2, s27, 0xcf800000, s2
	s_cvt_u32_f32 s29, s27
	s_wait_alu 0xfffe
	s_delay_alu instid0(SALU_CYCLE_1) | instskip(SKIP_1) | instid1(SALU_CYCLE_2)
	s_cvt_u32_f32 s28, s2
	s_wait_alu 0xfffe
	s_mul_u64 s[34:35], s[30:31], s[28:29]
	s_wait_alu 0xfffe
	s_mul_hi_u32 s37, s28, s35
	s_mul_i32 s36, s28, s35
	s_mul_hi_u32 s2, s28, s34
	s_mul_i32 s33, s29, s34
	s_wait_alu 0xfffe
	s_add_nc_u64 s[36:37], s[2:3], s[36:37]
	s_mul_hi_u32 s27, s29, s34
	s_mul_hi_u32 s38, s29, s35
	s_add_co_u32 s2, s36, s33
	s_wait_alu 0xfffe
	s_add_co_ci_u32 s2, s37, s27
	s_mul_i32 s34, s29, s35
	s_add_co_ci_u32 s35, s38, 0
	s_wait_alu 0xfffe
	s_add_nc_u64 s[34:35], s[2:3], s[34:35]
	s_wait_alu 0xfffe
	v_add_co_u32 v2, s2, s28, s34
	s_delay_alu instid0(VALU_DEP_1) | instskip(SKIP_1) | instid1(VALU_DEP_1)
	s_cmp_lg_u32 s2, 0
	s_add_co_ci_u32 s29, s29, s35
	v_readfirstlane_b32 s28, v2
	s_wait_alu 0xfffe
	s_delay_alu instid0(VALU_DEP_1)
	s_mul_u64 s[30:31], s[30:31], s[28:29]
	s_wait_alu 0xfffe
	s_mul_hi_u32 s35, s28, s31
	s_mul_i32 s34, s28, s31
	s_mul_hi_u32 s2, s28, s30
	s_mul_i32 s33, s29, s30
	s_wait_alu 0xfffe
	s_add_nc_u64 s[34:35], s[2:3], s[34:35]
	s_mul_hi_u32 s27, s29, s30
	s_mul_hi_u32 s28, s29, s31
	s_wait_alu 0xfffe
	s_add_co_u32 s2, s34, s33
	s_add_co_ci_u32 s2, s35, s27
	s_mul_i32 s30, s29, s31
	s_add_co_ci_u32 s31, s28, 0
	s_wait_alu 0xfffe
	s_add_nc_u64 s[30:31], s[2:3], s[30:31]
	s_wait_alu 0xfffe
	v_add_co_u32 v2, s2, v2, s30
	s_delay_alu instid0(VALU_DEP_1) | instskip(SKIP_1) | instid1(VALU_DEP_1)
	s_cmp_lg_u32 s2, 0
	s_add_co_ci_u32 s2, s29, s31
	v_mul_hi_u32 v15, v9, v2
	s_wait_alu 0xfffe
	v_mad_co_u64_u32 v[5:6], null, v9, s2, 0
	v_mad_co_u64_u32 v[11:12], null, v10, v2, 0
	;; [unrolled: 1-line block ×3, first 2 shown]
	s_delay_alu instid0(VALU_DEP_3) | instskip(SKIP_1) | instid1(VALU_DEP_4)
	v_add_co_u32 v2, vcc_lo, v15, v5
	s_wait_alu 0xfffd
	v_add_co_ci_u32_e32 v5, vcc_lo, 0, v6, vcc_lo
	s_delay_alu instid0(VALU_DEP_2) | instskip(SKIP_1) | instid1(VALU_DEP_2)
	v_add_co_u32 v2, vcc_lo, v2, v11
	s_wait_alu 0xfffd
	v_add_co_ci_u32_e32 v2, vcc_lo, v5, v12, vcc_lo
	s_wait_alu 0xfffd
	v_add_co_ci_u32_e32 v5, vcc_lo, 0, v14, vcc_lo
	s_delay_alu instid0(VALU_DEP_2) | instskip(SKIP_1) | instid1(VALU_DEP_2)
	v_add_co_u32 v2, vcc_lo, v2, v13
	s_wait_alu 0xfffd
	v_add_co_ci_u32_e32 v11, vcc_lo, 0, v5, vcc_lo
	s_delay_alu instid0(VALU_DEP_2) | instskip(SKIP_1) | instid1(VALU_DEP_3)
	v_mul_lo_u32 v12, s25, v2
	v_mad_co_u64_u32 v[5:6], null, s24, v2, 0
	v_mul_lo_u32 v13, s24, v11
	s_delay_alu instid0(VALU_DEP_2) | instskip(NEXT) | instid1(VALU_DEP_2)
	v_sub_co_u32 v5, vcc_lo, v9, v5
	v_add3_u32 v6, v6, v13, v12
	s_delay_alu instid0(VALU_DEP_1) | instskip(SKIP_1) | instid1(VALU_DEP_1)
	v_sub_nc_u32_e32 v12, v10, v6
	s_wait_alu 0xfffd
	v_subrev_co_ci_u32_e64 v12, s2, s25, v12, vcc_lo
	v_add_co_u32 v13, s2, v2, 2
	s_wait_alu 0xf1ff
	v_add_co_ci_u32_e64 v14, s2, 0, v11, s2
	v_sub_co_u32 v15, s2, v5, s24
	v_sub_co_ci_u32_e32 v6, vcc_lo, v10, v6, vcc_lo
	s_wait_alu 0xf1ff
	v_subrev_co_ci_u32_e64 v12, s2, 0, v12, s2
	s_delay_alu instid0(VALU_DEP_3) | instskip(NEXT) | instid1(VALU_DEP_3)
	v_cmp_le_u32_e32 vcc_lo, s24, v15
	v_cmp_eq_u32_e64 s2, s25, v6
	s_wait_alu 0xfffd
	v_cndmask_b32_e64 v15, 0, -1, vcc_lo
	v_cmp_le_u32_e32 vcc_lo, s25, v12
	s_wait_alu 0xfffd
	v_cndmask_b32_e64 v16, 0, -1, vcc_lo
	v_cmp_le_u32_e32 vcc_lo, s24, v5
	;; [unrolled: 3-line block ×3, first 2 shown]
	s_wait_alu 0xfffd
	v_cndmask_b32_e64 v17, 0, -1, vcc_lo
	v_cmp_eq_u32_e32 vcc_lo, s25, v12
	s_wait_alu 0xf1ff
	s_delay_alu instid0(VALU_DEP_2)
	v_cndmask_b32_e64 v5, v17, v5, s2
	s_wait_alu 0xfffd
	v_cndmask_b32_e32 v12, v16, v15, vcc_lo
	v_add_co_u32 v15, vcc_lo, v2, 1
	s_wait_alu 0xfffd
	v_add_co_ci_u32_e32 v16, vcc_lo, 0, v11, vcc_lo
	s_delay_alu instid0(VALU_DEP_3) | instskip(SKIP_2) | instid1(VALU_DEP_3)
	v_cmp_ne_u32_e32 vcc_lo, 0, v12
	s_wait_alu 0xfffd
	v_cndmask_b32_e32 v12, v15, v13, vcc_lo
	v_cndmask_b32_e32 v6, v16, v14, vcc_lo
	v_cmp_ne_u32_e32 vcc_lo, 0, v5
	s_wait_alu 0xfffd
	s_delay_alu instid0(VALU_DEP_2)
	v_dual_cndmask_b32 v5, v2, v12 :: v_dual_cndmask_b32 v6, v11, v6
.LBB0_4:                                ;   in Loop: Header=BB0_2 Depth=1
	s_wait_alu 0xfffe
	s_and_not1_saveexec_b32 s2, s26
	s_cbranch_execz .LBB0_6
; %bb.5:                                ;   in Loop: Header=BB0_2 Depth=1
	v_cvt_f32_u32_e32 v2, s24
	s_sub_co_i32 s26, 0, s24
	s_delay_alu instid0(VALU_DEP_1) | instskip(NEXT) | instid1(TRANS32_DEP_1)
	v_rcp_iflag_f32_e32 v2, v2
	v_mul_f32_e32 v2, 0x4f7ffffe, v2
	s_delay_alu instid0(VALU_DEP_1) | instskip(SKIP_1) | instid1(VALU_DEP_1)
	v_cvt_u32_f32_e32 v2, v2
	s_wait_alu 0xfffe
	v_mul_lo_u32 v5, s26, v2
	s_delay_alu instid0(VALU_DEP_1) | instskip(NEXT) | instid1(VALU_DEP_1)
	v_mul_hi_u32 v5, v2, v5
	v_add_nc_u32_e32 v2, v2, v5
	s_delay_alu instid0(VALU_DEP_1) | instskip(NEXT) | instid1(VALU_DEP_1)
	v_mul_hi_u32 v2, v9, v2
	v_mul_lo_u32 v5, v2, s24
	v_add_nc_u32_e32 v6, 1, v2
	s_delay_alu instid0(VALU_DEP_2) | instskip(NEXT) | instid1(VALU_DEP_1)
	v_sub_nc_u32_e32 v5, v9, v5
	v_subrev_nc_u32_e32 v11, s24, v5
	v_cmp_le_u32_e32 vcc_lo, s24, v5
	s_wait_alu 0xfffd
	s_delay_alu instid0(VALU_DEP_2) | instskip(NEXT) | instid1(VALU_DEP_1)
	v_dual_cndmask_b32 v5, v5, v11 :: v_dual_cndmask_b32 v2, v2, v6
	v_cmp_le_u32_e32 vcc_lo, s24, v5
	s_delay_alu instid0(VALU_DEP_2) | instskip(SKIP_1) | instid1(VALU_DEP_1)
	v_add_nc_u32_e32 v6, 1, v2
	s_wait_alu 0xfffd
	v_dual_cndmask_b32 v5, v2, v6 :: v_dual_mov_b32 v6, v1
.LBB0_6:                                ;   in Loop: Header=BB0_2 Depth=1
	s_wait_alu 0xfffe
	s_or_b32 exec_lo, exec_lo, s2
	s_delay_alu instid0(VALU_DEP_1) | instskip(NEXT) | instid1(VALU_DEP_2)
	v_mul_lo_u32 v2, v6, s24
	v_mul_lo_u32 v13, v5, s25
	s_load_b64 s[26:27], s[18:19], 0x0
	v_mad_co_u64_u32 v[11:12], null, v5, s24, 0
	s_load_b64 s[24:25], s[16:17], 0x0
	s_add_nc_u64 s[20:21], s[20:21], 1
	s_add_nc_u64 s[16:17], s[16:17], 8
	s_wait_alu 0xfffe
	v_cmp_ge_u64_e64 s2, s[20:21], s[10:11]
	s_add_nc_u64 s[18:19], s[18:19], 8
	s_add_nc_u64 s[22:23], s[22:23], 8
	v_add3_u32 v2, v12, v13, v2
	v_sub_co_u32 v9, vcc_lo, v9, v11
	s_wait_alu 0xfffd
	s_delay_alu instid0(VALU_DEP_2) | instskip(SKIP_2) | instid1(VALU_DEP_1)
	v_sub_co_ci_u32_e32 v2, vcc_lo, v10, v2, vcc_lo
	s_and_b32 vcc_lo, exec_lo, s2
	s_wait_kmcnt 0x0
	v_mul_lo_u32 v10, s26, v2
	v_mul_lo_u32 v11, s27, v9
	v_mad_co_u64_u32 v[7:8], null, s26, v9, v[7:8]
	v_mul_lo_u32 v2, s24, v2
	v_mul_lo_u32 v12, s25, v9
	v_mad_co_u64_u32 v[3:4], null, s24, v9, v[3:4]
	s_delay_alu instid0(VALU_DEP_4) | instskip(NEXT) | instid1(VALU_DEP_2)
	v_add3_u32 v8, v11, v8, v10
	v_add3_u32 v4, v12, v4, v2
	s_wait_alu 0xfffe
	s_cbranch_vccnz .LBB0_9
; %bb.7:                                ;   in Loop: Header=BB0_2 Depth=1
	v_dual_mov_b32 v10, v6 :: v_dual_mov_b32 v9, v5
	s_branch .LBB0_2
.LBB0_8:
	v_dual_mov_b32 v3, v7 :: v_dual_mov_b32 v4, v8
	v_dual_mov_b32 v5, v9 :: v_dual_mov_b32 v6, v10
.LBB0_9:
	s_load_b64 s[0:1], s[0:1], 0x28
	v_mul_hi_u32 v2, 0x4444445, v0
	s_lshl_b64 s[10:11], s[10:11], 3
                                        ; implicit-def: $vgpr1
	s_wait_alu 0xfffe
	s_add_nc_u64 s[2:3], s[14:15], s[10:11]
	s_wait_kmcnt 0x0
	v_cmp_gt_u64_e32 vcc_lo, s[0:1], v[5:6]
	v_cmp_le_u64_e64 s0, s[0:1], v[5:6]
	s_delay_alu instid0(VALU_DEP_1)
	s_and_saveexec_b32 s1, s0
	s_wait_alu 0xfffe
	s_xor_b32 s0, exec_lo, s1
; %bb.10:
	v_mul_u32_u24_e32 v1, 60, v2
                                        ; implicit-def: $vgpr2
                                        ; implicit-def: $vgpr7_vgpr8
	s_delay_alu instid0(VALU_DEP_1)
	v_sub_nc_u32_e32 v1, v0, v1
                                        ; implicit-def: $vgpr0
; %bb.11:
	s_wait_alu 0xfffe
	s_or_saveexec_b32 s1, s0
	s_load_b64 s[2:3], s[2:3], 0x0
	s_xor_b32 exec_lo, exec_lo, s1
	s_cbranch_execz .LBB0_15
; %bb.12:
	s_add_nc_u64 s[10:11], s[12:13], s[10:11]
	v_lshlrev_b64_e32 v[7:8], 2, v[7:8]
	s_load_b64 s[10:11], s[10:11], 0x0
	s_wait_kmcnt 0x0
	v_mul_lo_u32 v1, s11, v5
	v_mul_lo_u32 v11, s10, v6
	v_mad_co_u64_u32 v[9:10], null, s10, v5, 0
	s_delay_alu instid0(VALU_DEP_1) | instskip(SKIP_1) | instid1(VALU_DEP_2)
	v_add3_u32 v10, v10, v11, v1
	v_mul_u32_u24_e32 v1, 60, v2
	v_lshlrev_b64_e32 v[9:10], 2, v[9:10]
	s_delay_alu instid0(VALU_DEP_2) | instskip(NEXT) | instid1(VALU_DEP_1)
	v_sub_nc_u32_e32 v1, v0, v1
	v_lshlrev_b32_e32 v11, 2, v1
	s_delay_alu instid0(VALU_DEP_3) | instskip(SKIP_1) | instid1(VALU_DEP_4)
	v_add_co_u32 v0, s0, s4, v9
	s_wait_alu 0xf1ff
	v_add_co_ci_u32_e64 v2, s0, s5, v10, s0
	s_delay_alu instid0(VALU_DEP_2) | instskip(SKIP_1) | instid1(VALU_DEP_2)
	v_add_co_u32 v7, s0, v0, v7
	s_wait_alu 0xf1ff
	v_add_co_ci_u32_e64 v8, s0, v2, v8, s0
	s_delay_alu instid0(VALU_DEP_2) | instskip(SKIP_1) | instid1(VALU_DEP_2)
	v_add_co_u32 v9, s0, v7, v11
	s_wait_alu 0xf1ff
	v_add_co_ci_u32_e64 v10, s0, 0, v8, s0
	s_clause 0x1f
	global_load_b32 v0, v[9:10], off
	global_load_b32 v2, v[9:10], off offset:240
	global_load_b32 v12, v[9:10], off offset:480
	;; [unrolled: 1-line block ×31, first 2 shown]
	s_clause 0x3
	global_load_b32 v42, v[9:10], off offset:7680
	global_load_b32 v43, v[9:10], off offset:7920
	;; [unrolled: 1-line block ×4, first 2 shown]
	v_add_nc_u32_e32 v10, 0, v11
	v_cmp_eq_u32_e64 s0, 59, v1
	s_delay_alu instid0(VALU_DEP_2)
	v_add_nc_u32_e32 v11, 0x200, v10
	v_add_nc_u32_e32 v45, 0x400, v10
	;; [unrolled: 1-line block ×11, first 2 shown]
	s_wait_loadcnt 0x22
	ds_store_2addr_b32 v10, v0, v2 offset1:60
	s_wait_loadcnt 0x20
	ds_store_2addr_b32 v10, v12, v13 offset0:120 offset1:180
	s_wait_loadcnt 0x1e
	ds_store_2addr_b32 v11, v14, v15 offset0:112 offset1:172
	;; [unrolled: 2-line block ×17, first 2 shown]
	s_and_saveexec_b32 s4, s0
	s_cbranch_execz .LBB0_14
; %bb.13:
	global_load_b32 v0, v[7:8], off offset:8640
	v_dual_mov_b32 v2, 0 :: v_dual_mov_b32 v1, 59
	s_wait_loadcnt 0x0
	ds_store_b32 v2, v0 offset:8640
.LBB0_14:
	s_wait_alu 0xfffe
	s_or_b32 exec_lo, exec_lo, s4
.LBB0_15:
	s_delay_alu instid0(SALU_CYCLE_1)
	s_or_b32 exec_lo, exec_lo, s1
	v_lshlrev_b32_e32 v2, 2, v1
	global_wb scope:SCOPE_SE
	s_wait_dscnt 0x0
	s_wait_kmcnt 0x0
	s_barrier_signal -1
	s_barrier_wait -1
	global_inv scope:SCOPE_SE
	v_add_nc_u32_e32 v0, 0, v2
	v_sub_nc_u32_e32 v9, 0, v2
	s_mov_b32 s1, exec_lo
                                        ; implicit-def: $vgpr7_vgpr8
	ds_load_u16 v12, v0
	ds_load_u16 v13, v9 offset:8640
	s_wait_dscnt 0x0
	v_add_f16_e32 v11, v13, v12
	v_sub_f16_e32 v10, v12, v13
	v_cmpx_ne_u32_e32 0, v1
	s_wait_alu 0xfffe
	s_xor_b32 s1, exec_lo, s1
	s_cbranch_execz .LBB0_17
; %bb.16:
	v_mov_b32_e32 v2, 0
	v_add_f16_e32 v11, v13, v12
	v_sub_f16_e32 v12, v12, v13
	s_delay_alu instid0(VALU_DEP_3) | instskip(NEXT) | instid1(VALU_DEP_1)
	v_lshlrev_b64_e32 v[7:8], 2, v[1:2]
	v_add_co_u32 v7, s0, s8, v7
	s_wait_alu 0xf1ff
	s_delay_alu instid0(VALU_DEP_2)
	v_add_co_ci_u32_e64 v8, s0, s9, v8, s0
	global_load_b32 v7, v[7:8], off offset:8600
	ds_load_u16 v8, v9 offset:8642
	ds_load_u16 v10, v0 offset:2
	s_wait_dscnt 0x0
	v_add_f16_e32 v13, v8, v10
	v_sub_f16_e32 v8, v10, v8
	s_wait_loadcnt 0x0
	v_lshrrev_b32_e32 v14, 16, v7
	s_delay_alu instid0(VALU_DEP_1) | instskip(NEXT) | instid1(VALU_DEP_3)
	v_fma_f16 v15, -v12, v14, v11
	v_fma_f16 v16, v13, v14, -v8
	v_fma_f16 v10, v13, v14, v8
	v_fma_f16 v11, v12, v14, v11
	s_delay_alu instid0(VALU_DEP_4) | instskip(NEXT) | instid1(VALU_DEP_4)
	v_fmac_f16_e32 v15, v7, v13
	v_fmac_f16_e32 v16, v12, v7
	s_delay_alu instid0(VALU_DEP_4) | instskip(NEXT) | instid1(VALU_DEP_4)
	v_fmac_f16_e32 v10, v12, v7
	v_fma_f16 v11, -v7, v13, v11
	v_dual_mov_b32 v8, v2 :: v_dual_mov_b32 v7, v1
	s_delay_alu instid0(VALU_DEP_4)
	v_pack_b32_f16 v12, v15, v16
	ds_store_b32 v9, v12 offset:8640
.LBB0_17:
	s_wait_alu 0xfffe
	s_and_not1_saveexec_b32 s0, s1
	s_cbranch_execz .LBB0_19
; %bb.18:
	v_mov_b32_e32 v2, 0
	ds_load_b32 v7, v2 offset:4320
	s_wait_dscnt 0x0
	v_pk_mul_f16 v12, 0xc0004000, v7
	v_mov_b32_e32 v7, 0
	v_mov_b32_e32 v8, 0
	ds_store_b32 v2, v12 offset:4320
.LBB0_19:
	s_wait_alu 0xfffe
	s_or_b32 exec_lo, exec_lo, s0
	v_lshlrev_b64_e32 v[7:8], 2, v[7:8]
	s_add_nc_u64 s[0:1], s[8:9], 0x2198
	v_perm_b32 v10, v10, v11, 0x5040100
	v_add_nc_u32_e32 v33, 0x1400, v0
	v_add_nc_u32_e32 v35, 0x400, v0
	;; [unrolled: 1-line block ×3, first 2 shown]
	s_wait_alu 0xfffe
	v_add_co_u32 v7, s0, s0, v7
	s_wait_alu 0xf1ff
	v_add_co_ci_u32_e64 v8, s0, s1, v8, s0
	v_add_nc_u32_e32 v36, 0x800, v0
	v_add_nc_u32_e32 v38, 0x1000, v0
	;; [unrolled: 1-line block ×3, first 2 shown]
	s_clause 0x5
	global_load_b32 v2, v[7:8], off offset:240
	global_load_b32 v12, v[7:8], off offset:480
	;; [unrolled: 1-line block ×6, first 2 shown]
	ds_store_b32 v0, v10
	global_load_b32 v10, v[7:8], off offset:1680
	ds_load_b32 v11, v0 offset:240
	ds_load_b32 v17, v9 offset:8400
	global_load_b32 v20, v[7:8], off offset:1920
	v_add_nc_u32_e32 v39, 0x200, v0
	v_cmp_gt_u32_e64 s0, 36, v1
	s_wait_dscnt 0x1
	v_lshrrev_b32_e32 v18, 16, v11
	s_wait_dscnt 0x0
	v_lshrrev_b32_e32 v19, 16, v17
	v_add_f16_e32 v21, v11, v17
	v_sub_f16_e32 v11, v11, v17
	s_delay_alu instid0(VALU_DEP_3) | instskip(SKIP_3) | instid1(VALU_DEP_1)
	v_add_f16_e32 v17, v19, v18
	v_sub_f16_e32 v18, v18, v19
	s_wait_loadcnt 0x7
	v_lshrrev_b32_e32 v22, 16, v2
	v_fma_f16 v19, v11, v22, v21
	s_delay_alu instid0(VALU_DEP_3) | instskip(SKIP_2) | instid1(VALU_DEP_4)
	v_fma_f16 v23, v17, v22, v18
	v_fma_f16 v21, -v11, v22, v21
	v_fma_f16 v18, v17, v22, -v18
	v_fma_f16 v19, -v2, v17, v19
	s_delay_alu instid0(VALU_DEP_4) | instskip(NEXT) | instid1(VALU_DEP_4)
	v_fmac_f16_e32 v23, v11, v2
	v_fmac_f16_e32 v21, v2, v17
	s_delay_alu instid0(VALU_DEP_4) | instskip(NEXT) | instid1(VALU_DEP_3)
	v_fmac_f16_e32 v18, v11, v2
	v_pack_b32_f16 v2, v19, v23
	s_wait_loadcnt 0x6
	v_lshrrev_b32_e32 v19, 16, v12
	s_delay_alu instid0(VALU_DEP_3)
	v_pack_b32_f16 v11, v21, v18
	ds_store_b32 v0, v2 offset:240
	ds_store_b32 v9, v11 offset:8400
	ds_load_b32 v2, v0 offset:480
	ds_load_b32 v11, v9 offset:8160
	s_wait_dscnt 0x1
	v_lshrrev_b32_e32 v17, 16, v2
	s_wait_dscnt 0x0
	v_lshrrev_b32_e32 v18, 16, v11
	v_add_f16_e32 v21, v2, v11
	v_sub_f16_e32 v2, v2, v11
	s_delay_alu instid0(VALU_DEP_3) | instskip(SKIP_1) | instid1(VALU_DEP_3)
	v_add_f16_e32 v11, v18, v17
	v_sub_f16_e32 v17, v17, v18
	v_fma_f16 v18, v2, v19, v21
	v_fma_f16 v21, -v2, v19, v21
	s_delay_alu instid0(VALU_DEP_3) | instskip(SKIP_1) | instid1(VALU_DEP_4)
	v_fma_f16 v22, v11, v19, v17
	v_fma_f16 v17, v11, v19, -v17
	v_fma_f16 v18, -v12, v11, v18
	s_delay_alu instid0(VALU_DEP_4)
	v_fmac_f16_e32 v21, v12, v11
	s_wait_loadcnt 0x5
	v_lshrrev_b32_e32 v19, 16, v13
	v_fmac_f16_e32 v22, v2, v12
	v_fmac_f16_e32 v17, v2, v12
	global_load_b32 v12, v[7:8], off offset:2160
	v_pack_b32_f16 v2, v18, v22
	v_pack_b32_f16 v11, v21, v17
	ds_store_b32 v0, v2 offset:480
	ds_store_b32 v9, v11 offset:8160
	ds_load_b32 v2, v0 offset:720
	ds_load_b32 v11, v9 offset:7920
	s_wait_dscnt 0x1
	v_lshrrev_b32_e32 v17, 16, v2
	s_wait_dscnt 0x0
	v_lshrrev_b32_e32 v18, 16, v11
	v_add_f16_e32 v21, v2, v11
	v_sub_f16_e32 v2, v2, v11
	s_delay_alu instid0(VALU_DEP_3) | instskip(SKIP_1) | instid1(VALU_DEP_3)
	v_add_f16_e32 v11, v18, v17
	v_sub_f16_e32 v17, v17, v18
	v_fma_f16 v18, v2, v19, v21
	v_fma_f16 v21, -v2, v19, v21
	s_delay_alu instid0(VALU_DEP_3) | instskip(SKIP_1) | instid1(VALU_DEP_4)
	v_fma_f16 v22, v11, v19, v17
	v_fma_f16 v17, v11, v19, -v17
	v_fma_f16 v18, -v13, v11, v18
	s_delay_alu instid0(VALU_DEP_4)
	v_fmac_f16_e32 v21, v13, v11
	s_wait_loadcnt 0x5
	v_lshrrev_b32_e32 v19, 16, v14
	v_fmac_f16_e32 v22, v2, v13
	v_fmac_f16_e32 v17, v2, v13
	global_load_b32 v13, v[7:8], off offset:2400
	v_pack_b32_f16 v2, v18, v22
	;; [unrolled: 28-line block ×5, first 2 shown]
	v_pack_b32_f16 v11, v21, v17
	ds_store_b32 v0, v2 offset:1440
	ds_store_b32 v9, v11 offset:7200
	ds_load_b32 v2, v0 offset:1680
	ds_load_b32 v11, v9 offset:6960
	s_wait_dscnt 0x1
	v_lshrrev_b32_e32 v17, 16, v2
	s_wait_dscnt 0x0
	v_lshrrev_b32_e32 v18, 16, v11
	v_add_f16_e32 v21, v2, v11
	v_sub_f16_e32 v2, v2, v11
	s_delay_alu instid0(VALU_DEP_3) | instskip(SKIP_1) | instid1(VALU_DEP_3)
	v_add_f16_e32 v11, v18, v17
	v_sub_f16_e32 v17, v17, v18
	v_fma_f16 v18, v2, v19, v21
	v_fma_f16 v21, -v2, v19, v21
	s_delay_alu instid0(VALU_DEP_3) | instskip(SKIP_1) | instid1(VALU_DEP_4)
	v_fma_f16 v22, v11, v19, v17
	v_fma_f16 v17, v11, v19, -v17
	v_fma_f16 v18, -v10, v11, v18
	s_delay_alu instid0(VALU_DEP_4)
	v_fmac_f16_e32 v21, v10, v11
	global_load_b32 v11, v[7:8], off offset:3360
	v_fmac_f16_e32 v22, v2, v10
	v_fmac_f16_e32 v17, v2, v10
	s_wait_loadcnt 0x6
	v_lshrrev_b32_e32 v19, 16, v20
	s_delay_alu instid0(VALU_DEP_3) | instskip(NEXT) | instid1(VALU_DEP_3)
	v_pack_b32_f16 v2, v18, v22
	v_pack_b32_f16 v10, v21, v17
	ds_store_b32 v0, v2 offset:1680
	ds_store_b32 v9, v10 offset:6960
	ds_load_b32 v2, v0 offset:1920
	ds_load_b32 v10, v9 offset:6720
	s_wait_dscnt 0x1
	v_lshrrev_b32_e32 v17, 16, v2
	s_wait_dscnt 0x0
	v_lshrrev_b32_e32 v18, 16, v10
	v_add_f16_e32 v21, v2, v10
	v_sub_f16_e32 v2, v2, v10
	s_delay_alu instid0(VALU_DEP_3) | instskip(SKIP_1) | instid1(VALU_DEP_3)
	v_add_f16_e32 v10, v18, v17
	v_sub_f16_e32 v17, v17, v18
	v_fma_f16 v18, v2, v19, v21
	v_fma_f16 v21, -v2, v19, v21
	s_delay_alu instid0(VALU_DEP_3) | instskip(SKIP_1) | instid1(VALU_DEP_3)
	v_fma_f16 v22, v10, v19, v17
	v_fma_f16 v17, v10, v19, -v17
	v_fmac_f16_e32 v21, v20, v10
	v_fma_f16 v18, -v20, v10, v18
	s_delay_alu instid0(VALU_DEP_4) | instskip(NEXT) | instid1(VALU_DEP_4)
	v_fmac_f16_e32 v22, v2, v20
	v_fmac_f16_e32 v17, v2, v20
	s_delay_alu instid0(VALU_DEP_2) | instskip(NEXT) | instid1(VALU_DEP_2)
	v_pack_b32_f16 v2, v18, v22
	v_pack_b32_f16 v10, v21, v17
	global_load_b32 v17, v[7:8], off offset:3600
	ds_store_b32 v0, v2 offset:1920
	ds_store_b32 v9, v10 offset:6720
	ds_load_b32 v2, v0 offset:2160
	ds_load_b32 v10, v9 offset:6480
	global_load_b32 v20, v[7:8], off offset:3840
	s_wait_dscnt 0x1
	v_lshrrev_b32_e32 v18, 16, v2
	s_wait_dscnt 0x0
	v_lshrrev_b32_e32 v19, 16, v10
	v_add_f16_e32 v22, v2, v10
	v_sub_f16_e32 v2, v2, v10
	s_delay_alu instid0(VALU_DEP_3) | instskip(SKIP_3) | instid1(VALU_DEP_1)
	v_add_f16_e32 v10, v19, v18
	v_sub_f16_e32 v18, v18, v19
	s_wait_loadcnt 0x7
	v_lshrrev_b32_e32 v21, 16, v12
	v_fma_f16 v19, v2, v21, v22
	s_delay_alu instid0(VALU_DEP_3) | instskip(SKIP_2) | instid1(VALU_DEP_4)
	v_fma_f16 v23, v10, v21, v18
	v_fma_f16 v22, -v2, v21, v22
	v_fma_f16 v18, v10, v21, -v18
	v_fma_f16 v19, -v12, v10, v19
	s_delay_alu instid0(VALU_DEP_4) | instskip(NEXT) | instid1(VALU_DEP_4)
	v_fmac_f16_e32 v23, v2, v12
	v_fmac_f16_e32 v22, v12, v10
	s_delay_alu instid0(VALU_DEP_4) | instskip(NEXT) | instid1(VALU_DEP_3)
	v_fmac_f16_e32 v18, v2, v12
	v_pack_b32_f16 v2, v19, v23
	s_delay_alu instid0(VALU_DEP_2)
	v_pack_b32_f16 v10, v22, v18
	ds_store_b32 v0, v2 offset:2160
	ds_store_b32 v9, v10 offset:6480
	ds_load_b32 v2, v0 offset:2400
	ds_load_b32 v10, v9 offset:6240
	global_load_b32 v7, v[7:8], off offset:4080
	s_wait_dscnt 0x1
	v_lshrrev_b32_e32 v12, 16, v2
	s_wait_dscnt 0x0
	v_lshrrev_b32_e32 v18, 16, v10
	v_add_f16_e32 v21, v2, v10
	v_sub_f16_e32 v2, v2, v10
	s_wait_loadcnt 0x7
	v_lshrrev_b32_e32 v19, 16, v13
	v_add_f16_e32 v10, v18, v12
	v_sub_f16_e32 v12, v12, v18
	s_delay_alu instid0(VALU_DEP_3) | instskip(SKIP_1) | instid1(VALU_DEP_3)
	v_fma_f16 v18, v2, v19, v21
	v_fma_f16 v21, -v2, v19, v21
	v_fma_f16 v22, v10, v19, v12
	v_fma_f16 v12, v10, v19, -v12
	s_delay_alu instid0(VALU_DEP_4) | instskip(NEXT) | instid1(VALU_DEP_4)
	v_fma_f16 v18, -v13, v10, v18
	v_fmac_f16_e32 v21, v13, v10
	s_delay_alu instid0(VALU_DEP_4) | instskip(NEXT) | instid1(VALU_DEP_4)
	v_fmac_f16_e32 v22, v2, v13
	v_fmac_f16_e32 v12, v2, v13
	s_delay_alu instid0(VALU_DEP_2) | instskip(NEXT) | instid1(VALU_DEP_2)
	v_pack_b32_f16 v2, v18, v22
	v_pack_b32_f16 v10, v21, v12
	ds_store_b32 v0, v2 offset:2400
	ds_store_b32 v9, v10 offset:6240
	ds_load_b32 v2, v0 offset:2640
	ds_load_b32 v8, v9 offset:6000
	s_wait_dscnt 0x1
	v_lshrrev_b32_e32 v10, 16, v2
	s_wait_dscnt 0x0
	v_lshrrev_b32_e32 v12, 16, v8
	v_add_f16_e32 v18, v2, v8
	v_sub_f16_e32 v2, v2, v8
	s_wait_loadcnt 0x6
	v_lshrrev_b32_e32 v13, 16, v14
	v_add_f16_e32 v8, v12, v10
	v_sub_f16_e32 v10, v10, v12
	s_delay_alu instid0(VALU_DEP_3) | instskip(SKIP_1) | instid1(VALU_DEP_3)
	v_fma_f16 v12, v2, v13, v18
	v_fma_f16 v18, -v2, v13, v18
	v_fma_f16 v19, v8, v13, v10
	v_fma_f16 v10, v8, v13, -v10
	s_delay_alu instid0(VALU_DEP_4) | instskip(NEXT) | instid1(VALU_DEP_4)
	v_fma_f16 v12, -v14, v8, v12
	v_fmac_f16_e32 v18, v14, v8
	s_delay_alu instid0(VALU_DEP_4) | instskip(NEXT) | instid1(VALU_DEP_4)
	v_fmac_f16_e32 v19, v2, v14
	v_fmac_f16_e32 v10, v2, v14
	s_delay_alu instid0(VALU_DEP_2) | instskip(NEXT) | instid1(VALU_DEP_2)
	v_pack_b32_f16 v2, v12, v19
	v_pack_b32_f16 v8, v18, v10
	ds_store_b32 v0, v2 offset:2640
	ds_store_b32 v9, v8 offset:6000
	ds_load_b32 v2, v0 offset:2880
	ds_load_b32 v8, v9 offset:5760
	s_wait_dscnt 0x1
	v_lshrrev_b32_e32 v10, 16, v2
	s_wait_dscnt 0x0
	v_lshrrev_b32_e32 v12, 16, v8
	v_add_f16_e32 v14, v2, v8
	v_sub_f16_e32 v2, v2, v8
	s_wait_loadcnt 0x5
	v_lshrrev_b32_e32 v13, 16, v15
	v_add_f16_e32 v8, v12, v10
	v_sub_f16_e32 v10, v10, v12
	s_delay_alu instid0(VALU_DEP_3) | instskip(SKIP_1) | instid1(VALU_DEP_3)
	v_fma_f16 v12, v2, v13, v14
	v_fma_f16 v14, -v2, v13, v14
	v_fma_f16 v18, v8, v13, v10
	v_fma_f16 v10, v8, v13, -v10
	s_delay_alu instid0(VALU_DEP_4) | instskip(NEXT) | instid1(VALU_DEP_4)
	v_fma_f16 v12, -v15, v8, v12
	v_fmac_f16_e32 v14, v15, v8
	s_delay_alu instid0(VALU_DEP_4) | instskip(NEXT) | instid1(VALU_DEP_4)
	v_fmac_f16_e32 v18, v2, v15
	v_fmac_f16_e32 v10, v2, v15
	s_delay_alu instid0(VALU_DEP_2) | instskip(NEXT) | instid1(VALU_DEP_2)
	v_pack_b32_f16 v2, v12, v18
	v_pack_b32_f16 v8, v14, v10
	ds_store_b32 v0, v2 offset:2880
	ds_store_b32 v9, v8 offset:5760
	ds_load_b32 v2, v0 offset:3120
	ds_load_b32 v8, v9 offset:5520
	s_wait_dscnt 0x1
	v_lshrrev_b32_e32 v10, 16, v2
	s_wait_dscnt 0x0
	v_lshrrev_b32_e32 v12, 16, v8
	v_add_f16_e32 v14, v2, v8
	v_sub_f16_e32 v2, v2, v8
	s_wait_loadcnt 0x4
	v_lshrrev_b32_e32 v13, 16, v16
	v_add_f16_e32 v8, v12, v10
	v_sub_f16_e32 v10, v10, v12
	s_delay_alu instid0(VALU_DEP_3) | instskip(SKIP_1) | instid1(VALU_DEP_3)
	v_fma_f16 v12, v2, v13, v14
	v_fma_f16 v14, -v2, v13, v14
	v_fma_f16 v15, v8, v13, v10
	v_fma_f16 v10, v8, v13, -v10
	s_delay_alu instid0(VALU_DEP_4) | instskip(NEXT) | instid1(VALU_DEP_4)
	v_fma_f16 v12, -v16, v8, v12
	v_fmac_f16_e32 v14, v16, v8
	s_delay_alu instid0(VALU_DEP_4) | instskip(NEXT) | instid1(VALU_DEP_4)
	v_fmac_f16_e32 v15, v2, v16
	v_fmac_f16_e32 v10, v2, v16
	s_delay_alu instid0(VALU_DEP_2) | instskip(NEXT) | instid1(VALU_DEP_2)
	v_pack_b32_f16 v2, v12, v15
	v_pack_b32_f16 v8, v14, v10
	ds_store_b32 v0, v2 offset:3120
	ds_store_b32 v9, v8 offset:5520
	ds_load_b32 v2, v0 offset:3360
	ds_load_b32 v8, v9 offset:5280
	s_wait_dscnt 0x1
	v_lshrrev_b32_e32 v10, 16, v2
	s_wait_dscnt 0x0
	v_lshrrev_b32_e32 v12, 16, v8
	s_wait_loadcnt 0x3
	v_lshrrev_b32_e32 v13, 16, v11
	v_add_f16_e32 v14, v2, v8
	v_sub_f16_e32 v2, v2, v8
	v_add_f16_e32 v8, v12, v10
	v_sub_f16_e32 v10, v10, v12
	s_delay_alu instid0(VALU_DEP_3) | instskip(SKIP_1) | instid1(VALU_DEP_3)
	v_fma_f16 v12, v2, v13, v14
	v_fma_f16 v14, -v2, v13, v14
	v_fma_f16 v15, v8, v13, v10
	v_fma_f16 v10, v8, v13, -v10
	s_delay_alu instid0(VALU_DEP_4) | instskip(NEXT) | instid1(VALU_DEP_4)
	v_fma_f16 v12, -v11, v8, v12
	v_fmac_f16_e32 v14, v11, v8
	s_delay_alu instid0(VALU_DEP_4) | instskip(NEXT) | instid1(VALU_DEP_4)
	v_fmac_f16_e32 v15, v2, v11
	v_fmac_f16_e32 v10, v2, v11
	s_delay_alu instid0(VALU_DEP_2) | instskip(NEXT) | instid1(VALU_DEP_2)
	v_pack_b32_f16 v2, v12, v15
	v_pack_b32_f16 v8, v14, v10
	ds_store_b32 v0, v2 offset:3360
	ds_store_b32 v9, v8 offset:5280
	ds_load_b32 v2, v0 offset:3600
	ds_load_b32 v8, v9 offset:5040
	s_wait_dscnt 0x1
	v_lshrrev_b32_e32 v10, 16, v2
	s_wait_dscnt 0x0
	v_lshrrev_b32_e32 v11, 16, v8
	v_add_f16_e32 v13, v2, v8
	v_sub_f16_e32 v2, v2, v8
	s_delay_alu instid0(VALU_DEP_3) | instskip(SKIP_3) | instid1(VALU_DEP_1)
	v_add_f16_e32 v8, v11, v10
	v_sub_f16_e32 v10, v10, v11
	s_wait_loadcnt 0x2
	v_lshrrev_b32_e32 v12, 16, v17
	v_fma_f16 v11, v2, v12, v13
	s_delay_alu instid0(VALU_DEP_3)
	v_fma_f16 v14, v8, v12, v10
	v_fma_f16 v13, -v2, v12, v13
	v_fma_f16 v10, v8, v12, -v10
	s_wait_loadcnt 0x1
	v_lshrrev_b32_e32 v12, 16, v20
	v_fma_f16 v11, -v17, v8, v11
	v_fmac_f16_e32 v14, v2, v17
	v_fmac_f16_e32 v13, v17, v8
	;; [unrolled: 1-line block ×3, first 2 shown]
	s_delay_alu instid0(VALU_DEP_3) | instskip(NEXT) | instid1(VALU_DEP_2)
	v_pack_b32_f16 v2, v11, v14
	v_pack_b32_f16 v8, v13, v10
	ds_store_b32 v0, v2 offset:3600
	ds_store_b32 v9, v8 offset:5040
	ds_load_b32 v2, v0 offset:3840
	ds_load_b32 v8, v9 offset:4800
	s_wait_dscnt 0x1
	v_lshrrev_b32_e32 v10, 16, v2
	s_wait_dscnt 0x0
	v_lshrrev_b32_e32 v11, 16, v8
	v_add_f16_e32 v13, v2, v8
	v_sub_f16_e32 v2, v2, v8
	s_delay_alu instid0(VALU_DEP_3) | instskip(SKIP_1) | instid1(VALU_DEP_3)
	v_add_f16_e32 v8, v11, v10
	v_sub_f16_e32 v10, v10, v11
	v_fma_f16 v11, v2, v12, v13
	v_fma_f16 v13, -v2, v12, v13
	s_delay_alu instid0(VALU_DEP_3) | instskip(SKIP_1) | instid1(VALU_DEP_4)
	v_fma_f16 v14, v8, v12, v10
	v_fma_f16 v10, v8, v12, -v10
	v_fma_f16 v11, -v20, v8, v11
	s_delay_alu instid0(VALU_DEP_4) | instskip(SKIP_4) | instid1(VALU_DEP_2)
	v_fmac_f16_e32 v13, v20, v8
	s_wait_loadcnt 0x0
	v_lshrrev_b32_e32 v12, 16, v7
	v_fmac_f16_e32 v14, v2, v20
	v_fmac_f16_e32 v10, v2, v20
	v_pack_b32_f16 v2, v11, v14
	s_delay_alu instid0(VALU_DEP_2)
	v_pack_b32_f16 v8, v13, v10
	ds_store_b32 v0, v2 offset:3840
	ds_store_b32 v9, v8 offset:4800
	ds_load_b32 v2, v0 offset:4080
	ds_load_b32 v8, v9 offset:4560
	s_wait_dscnt 0x1
	v_lshrrev_b32_e32 v10, 16, v2
	s_wait_dscnt 0x0
	v_lshrrev_b32_e32 v11, 16, v8
	v_add_f16_e32 v13, v2, v8
	v_sub_f16_e32 v8, v2, v8
	s_delay_alu instid0(VALU_DEP_3) | instskip(SKIP_1) | instid1(VALU_DEP_3)
	v_add_f16_e32 v14, v11, v10
	v_sub_f16_e32 v2, v10, v11
	v_fma_f16 v10, v8, v12, v13
	v_fma_f16 v11, -v8, v12, v13
	s_delay_alu instid0(VALU_DEP_3) | instskip(SKIP_1) | instid1(VALU_DEP_4)
	v_fma_f16 v13, v14, v12, v2
	v_fma_f16 v12, v14, v12, -v2
	v_fma_f16 v10, -v7, v14, v10
	s_delay_alu instid0(VALU_DEP_4) | instskip(SKIP_4) | instid1(VALU_DEP_3)
	v_fmac_f16_e32 v11, v7, v14
	v_add_nc_u32_e32 v2, 0xc00, v0
	v_fmac_f16_e32 v13, v8, v7
	v_fmac_f16_e32 v12, v8, v7
	v_add_nc_u32_e32 v7, 0xe00, v0
	v_pack_b32_f16 v8, v10, v13
	s_delay_alu instid0(VALU_DEP_3)
	v_pack_b32_f16 v10, v11, v12
	ds_store_b32 v0, v8 offset:4080
	ds_store_b32 v9, v10 offset:4560
	global_wb scope:SCOPE_SE
	s_wait_dscnt 0x0
	s_barrier_signal -1
	s_barrier_wait -1
	global_inv scope:SCOPE_SE
	global_wb scope:SCOPE_SE
	s_barrier_signal -1
	s_barrier_wait -1
	global_inv scope:SCOPE_SE
	ds_load_2addr_b32 v[27:28], v2 offset0:96 offset1:156
	ds_load_2addr_b32 v[25:26], v33 offset0:16 offset1:76
	;; [unrolled: 1-line block ×4, first 2 shown]
	v_add_nc_u32_e32 v8, 0x1600, v0
	v_add_nc_u32_e32 v9, 0x2000, v0
	ds_load_2addr_b32 v[42:43], v0 offset1:60
	ds_load_2addr_b32 v[21:22], v36 offset0:40 offset1:100
	ds_load_2addr_b32 v[13:14], v7 offset0:88 offset1:148
	;; [unrolled: 1-line block ×11, first 2 shown]
	ds_load_2addr_b32 v[23:24], v2 offset1:60
	ds_load_2addr_b32 v[17:18], v38 offset0:176 offset1:236
	s_wait_dscnt 0xd
	v_lshrrev_b32_e32 v40, 16, v42
	s_wait_dscnt 0xc
	v_lshrrev_b32_e32 v123, 16, v21
	s_wait_dscnt 0xb
	v_sub_f16_e32 v120, v13, v21
	s_wait_dscnt 0xa
	v_lshrrev_b32_e32 v113, 16, v57
	s_wait_dscnt 0x9
	v_add_f16_e32 v91, v57, v111
	s_wait_dscnt 0x8
	v_lshrrev_b32_e32 v71, 16, v44
	v_sub_f16_e32 v77, v44, v56
	s_wait_dscnt 0x7
	v_add_f16_e32 v70, v44, v29
	v_add_f16_e32 v46, v27, v25
	v_pk_add_f16 v67, v42, v31
	v_add_f16_e32 v47, v31, v19
	v_add_f16_e32 v80, v28, v26
	v_pk_add_f16 v90, v43, v32
	v_sub_f16_e32 v79, v56, v44
	s_wait_dscnt 0x4
	v_pk_add_f16 v72, v58, v44
	v_sub_f16_e32 v51, v44, v29
	v_lshrrev_b32_e32 v97, 16, v45
	v_sub_f16_e32 v96, v45, v57
	v_add_f16_e32 v92, v45, v30
	v_pk_add_f16 v93, v59, v45
	v_sub_f16_e32 v116, v57, v45
	v_sub_f16_e32 v48, v45, v30
	v_fma_f16 v44, -0.5, v46, v42
	v_fma_f16 v45, -0.5, v47, v42
	;; [unrolled: 1-line block ×3, first 2 shown]
	v_pk_add_f16 v80, v67, v27
	v_pk_add_f16 v131, v90, v28
	v_lshrrev_b32_e32 v63, 16, v25
	v_sub_f16_e32 v64, v19, v25
	v_sub_f16_e32 v66, v25, v19
	;; [unrolled: 1-line block ×3, first 2 shown]
	v_lshrrev_b32_e32 v84, 16, v26
	v_sub_f16_e32 v85, v20, v26
	v_sub_f16_e32 v88, v26, v20
	;; [unrolled: 1-line block ×4, first 2 shown]
	v_pk_add_f16 v25, v80, v25
	v_pk_add_f16 v26, v131, v26
	v_sub_f16_e32 v50, v57, v111
	v_pk_add_f16 v133, v93, v57
	v_add_f16_e32 v57, v120, v119
	v_pk_add_f16 v119, v25, v19
	v_pk_add_f16 v120, v26, v20
	ds_load_2addr_b32 v[25:26], v35 offset0:80 offset1:140
	v_lshrrev_b32_e32 v60, 16, v31
	v_lshrrev_b32_e32 v61, 16, v19
	;; [unrolled: 1-line block ×3, first 2 shown]
	v_sub_f16_e32 v65, v31, v27
	v_add_f16_e32 v69, v56, v110
	v_lshrrev_b32_e32 v73, 16, v29
	v_lshrrev_b32_e32 v75, 16, v56
	;; [unrolled: 1-line block ×3, first 2 shown]
	v_sub_f16_e32 v74, v29, v110
	v_lshrrev_b32_e32 v81, 16, v32
	v_lshrrev_b32_e32 v82, 16, v20
	v_lshrrev_b32_e32 v83, 16, v28
	v_sub_f16_e32 v86, v32, v28
	v_lshrrev_b32_e32 v112, 16, v30
	v_lshrrev_b32_e32 v114, 16, v111
	v_sub_f16_e32 v95, v30, v111
	v_sub_f16_e32 v68, v27, v31
	v_sub_f16_e32 v53, v31, v19
	v_add_f16_e32 v87, v32, v20
	v_sub_f16_e32 v89, v28, v32
	v_sub_f16_e32 v49, v32, v20
	;; [unrolled: 1-line block ×3, first 2 shown]
	s_wait_dscnt 0x1
	v_lshrrev_b32_e32 v129, 16, v17
	v_lshrrev_b32_e32 v130, 16, v15
	v_fma_f16 v46, -0.5, v69, v58
	v_fma_f16 v47, -0.5, v70, v58
	;; [unrolled: 1-line block ×4, first 2 shown]
	v_pk_add_f16 v132, v72, v56
	v_sub_f16_e32 v69, v60, v61
	v_add_f16_e32 v67, v65, v64
	v_sub_f16_e32 v72, v62, v63
	v_add_f16_e32 v104, v62, v63
	;; [unrolled: 2-line block ×3, first 2 shown]
	v_sub_f16_e32 v105, v63, v61
	v_sub_f16_e32 v70, v71, v73
	v_add_f16_e32 v65, v77, v74
	v_sub_f16_e32 v74, v75, v76
	v_add_f16_e32 v98, v75, v76
	v_sub_f16_e32 v106, v71, v75
	v_sub_f16_e32 v108, v73, v76
	v_sub_f16_e32 v90, v75, v71
	v_add_f16_e32 v102, v71, v73
	v_sub_f16_e32 v93, v76, v73
	v_sub_f16_e32 v71, v81, v82
	v_add_f16_e32 v63, v86, v85
	v_sub_f16_e32 v75, v83, v84
	v_add_f16_e32 v92, v83, v84
	v_sub_f16_e32 v100, v81, v83
	v_sub_f16_e32 v101, v82, v84
	v_sub_f16_e32 v91, v83, v81
	v_add_f16_e32 v99, v81, v82
	;; [unrolled: 9-line block ×3, first 2 shown]
	v_sub_f16_e32 v84, v114, v112
	v_lshrrev_b32_e32 v112, 16, v23
	v_lshrrev_b32_e32 v113, 16, v9
	v_pk_add_f16 v111, v133, v111
	ds_load_2addr_b32 v[19:20], v0 offset0:120 offset1:180
	v_sub_f16_e32 v55, v56, v110
	v_sub_f16_e32 v117, v7, v11
	;; [unrolled: 1-line block ×5, first 2 shown]
	v_add_f16_e32 v60, v116, v115
	v_add_f16_e64 v114, v129, v130
	v_sub_f16_e64 v115, v112, v129
	v_sub_f16_e64 v116, v129, v112
	v_sub_f16_e32 v80, v112, v113
	v_add_f16_e32 v112, v112, v113
	v_pk_add_f16 v30, v111, v30
	s_wait_dscnt 0x1
	v_lshrrev_b32_e32 v111, 16, v25
	v_sub_f16_e32 v78, v110, v29
	v_lshrrev_b32_e32 v41, 16, v58
	v_add_f16_e32 v58, v118, v117
	v_pk_add_f16 v110, v132, v110
	v_sub_f16_e64 v117, v113, v130
	v_fma_f16 v114, -0.5, v114, v111
	v_fmac_f16_e32 v111, -0.5, v112
	v_fmamk_f16 v112, v69, 0x3b9c, v44
	v_fmac_f16_e32 v44, 0xbb9c, v69
	v_lshrrev_b32_e32 v32, 16, v59
	v_lshrrev_b32_e32 v121, 16, v13
	;; [unrolled: 1-line block ×4, first 2 shown]
	v_pk_add_f16 v29, v110, v29
	v_add_f16_e32 v110, v115, v117
	v_fmamk_f16 v115, v72, 0xbb9c, v45
	v_fmac_f16_e32 v45, 0x3b9c, v72
	v_fmac_f16_e32 v112, 0x38b4, v72
	;; [unrolled: 1-line block ×3, first 2 shown]
	v_fmamk_f16 v72, v70, 0x3b9c, v46
	v_fmac_f16_e32 v46, 0xbb9c, v70
	v_lshrrev_b32_e32 v31, 16, v43
	v_fma_f16 v43, -0.5, v87, v43
	v_add_f16_e32 v62, v89, v88
	v_add_f16_e32 v85, v121, v122
	v_sub_f16_e32 v87, v123, v121
	v_add_f16_e32 v88, v123, v124
	v_sub_f16_e32 v97, v124, v122
	v_fma_f16 v81, -0.5, v81, v32
	v_fmac_f16_e32 v32, -0.5, v86
	s_wait_dscnt 0x0
	v_lshrrev_b32_e32 v86, 16, v19
	v_add_f16_e32 v82, v82, v84
	v_add_f16_e32 v84, v13, v11
	v_fmac_f16_e32 v115, 0x38b4, v69
	v_fmac_f16_e32 v45, 0xb8b4, v69
	v_fmamk_f16 v69, v74, 0xbb9c, v47
	v_fmac_f16_e32 v47, 0x3b9c, v74
	v_fmac_f16_e32 v72, 0x38b4, v74
	;; [unrolled: 1-line block ×3, first 2 shown]
	v_fmamk_f16 v74, v71, 0x3b9c, v42
	v_fmac_f16_e32 v42, 0xbb9c, v71
	v_sub_f16_e32 v83, v121, v123
	v_sub_f16_e32 v77, v123, v124
	;; [unrolled: 1-line block ×3, first 2 shown]
	v_add_f16_e32 v87, v87, v97
	v_add_f16_e32 v97, v21, v7
	v_fma_f16 v85, -0.5, v85, v86
	v_fmac_f16_e32 v86, -0.5, v88
	v_add_f16_e32 v88, v17, v15
	v_fma_f16 v84, -0.5, v84, v19
	v_fmac_f16_e32 v69, 0x38b4, v70
	v_fmac_f16_e32 v47, 0xb8b4, v70
	v_fmamk_f16 v70, v75, 0xbb9c, v43
	v_fmac_f16_e32 v43, 0x3b9c, v75
	v_fmac_f16_e32 v74, 0x38b4, v75
	;; [unrolled: 1-line block ×3, first 2 shown]
	v_fmamk_f16 v75, v73, 0x3b9c, v27
	v_fmac_f16_e32 v27, 0xbb9c, v73
	v_add_f16_e32 v64, v79, v78
	v_sub_f16_e32 v78, v121, v122
	v_add_f16_e32 v83, v83, v89
	v_add_f16_e32 v89, v23, v9
	v_fma_f16 v97, -0.5, v97, v19
	v_fma_f16 v88, -0.5, v88, v25
	v_fmac_f16_e32 v70, 0x38b4, v71
	v_fmac_f16_e32 v43, 0xb8b4, v71
	v_fmamk_f16 v71, v76, 0xbb9c, v28
	v_fmac_f16_e32 v28, 0x3b9c, v76
	v_fmac_f16_e32 v75, 0x38b4, v76
	;; [unrolled: 1-line block ×3, first 2 shown]
	v_fmamk_f16 v76, v77, 0x3b9c, v84
	v_fmac_f16_e32 v84, 0xbb9c, v77
	v_add_f16_e32 v66, v68, v66
	v_sub_f16_e64 v79, v129, v130
	v_fma_f16 v104, -0.5, v104, v40
	v_fmac_f16_e32 v40, -0.5, v107
	v_fma_f16 v89, -0.5, v89, v25
	v_fmac_f16_e32 v71, 0x38b4, v73
	v_fmac_f16_e32 v28, 0xb8b4, v73
	v_fmamk_f16 v73, v78, 0xbb9c, v97
	v_fmac_f16_e32 v97, 0x3b9c, v78
	v_fmac_f16_e32 v76, 0x38b4, v78
	;; [unrolled: 1-line block ×3, first 2 shown]
	v_fmamk_f16 v78, v80, 0x3b9c, v88
	v_fmac_f16_e32 v88, 0xbb9c, v80
	v_fma_f16 v98, -0.5, v98, v41
	v_fmac_f16_e32 v41, -0.5, v102
	v_fmac_f16_e32 v73, 0x38b4, v77
	v_fmac_f16_e32 v97, 0xb8b4, v77
	v_fmamk_f16 v77, v79, 0xbb9c, v89
	v_fmac_f16_e32 v89, 0x3b9c, v79
	v_fmac_f16_e32 v78, 0x38b4, v79
	;; [unrolled: 1-line block ×3, first 2 shown]
	v_sub_f16_e32 v79, v21, v7
	v_fmac_f16_e32 v115, 0x34f2, v66
	v_fmac_f16_e32 v45, 0x34f2, v66
	v_fmamk_f16 v66, v54, 0x3b9c, v40
	v_fmac_f16_e32 v40, 0xbb9c, v54
	v_pk_add_f16 v19, v19, v21
	v_pk_add_f16 v21, v25, v23
	v_fma_f16 v92, -0.5, v92, v31
	v_fmac_f16_e32 v31, -0.5, v99
	v_fmac_f16_e32 v77, 0x38b4, v80
	v_fmac_f16_e32 v89, 0xb8b4, v80
	v_sub_f16_e32 v80, v13, v11
	v_fmac_f16_e32 v112, 0x34f2, v67
	v_fmac_f16_e32 v44, 0x34f2, v67
	v_fmamk_f16 v67, v53, 0xbb9c, v104
	v_fmac_f16_e32 v104, 0x3b9c, v53
	v_fmac_f16_e32 v66, 0xb8b4, v53
	;; [unrolled: 1-line block ×3, first 2 shown]
	v_fmamk_f16 v53, v55, 0x3b9c, v41
	v_fmac_f16_e32 v41, 0xbb9c, v55
	v_pk_add_f16 v13, v19, v13
	v_pk_add_f16 v19, v21, v17
	v_sub_f16_e32 v125, v9, v15
	v_sub_f16_e32 v126, v23, v17
	v_sub_f16_e64 v128, v17, v23
	v_fmamk_f16 v25, v51, 0xbb9c, v98
	v_fmac_f16_e32 v98, 0x3b9c, v51
	v_sub_f16_e32 v23, v23, v9
	v_fmac_f16_e32 v53, 0xb8b4, v51
	v_fmac_f16_e32 v41, 0x38b4, v51
	v_pk_add_f16 v11, v13, v11
	v_pk_add_f16 v13, v19, v15
	v_fmamk_f16 v19, v52, 0x3b9c, v31
	v_fmac_f16_e32 v31, 0xbb9c, v52
	v_fmamk_f16 v51, v48, 0xbb9c, v81
	v_fmac_f16_e32 v81, 0x3b9c, v48
	v_sub_f16_e32 v127, v15, v9
	v_sub_f16_e32 v17, v17, v15
	v_add_f16_e32 v59, v126, v125
	v_fmamk_f16 v15, v49, 0xbb9c, v92
	v_fmac_f16_e32 v92, 0x3b9c, v49
	v_fmac_f16_e32 v19, 0xb8b4, v49
	;; [unrolled: 1-line block ×3, first 2 shown]
	v_fmamk_f16 v49, v50, 0x3b9c, v32
	v_fmac_f16_e32 v32, 0xbb9c, v50
	v_fmac_f16_e32 v51, 0xb8b4, v50
	;; [unrolled: 1-line block ×3, first 2 shown]
	v_fmamk_f16 v50, v23, 0xbb9c, v114
	v_add_f16_e64 v68, v128, v127
	v_sub_f16_e64 v113, v130, v113
	v_fmac_f16_e32 v25, 0xb8b4, v55
	v_fmac_f16_e32 v98, 0x38b4, v55
	;; [unrolled: 1-line block ×3, first 2 shown]
	v_fmamk_f16 v55, v17, 0x3b9c, v111
	v_fmac_f16_e32 v111, 0xbb9c, v17
	v_add_f16_e32 v106, v106, v108
	v_add_f16_e32 v90, v90, v93
	v_fmac_f16_e32 v72, 0x34f2, v65
	v_fmac_f16_e32 v47, 0x34f2, v64
	v_pk_add_f16 v7, v11, v7
	v_pk_add_f16 v9, v13, v9
	v_fmac_f16_e32 v78, 0x34f2, v59
	v_fmac_f16_e32 v50, 0xb8b4, v17
	;; [unrolled: 1-line block ×3, first 2 shown]
	v_add_f16_e32 v95, v95, v96
	v_add_f16_e32 v113, v116, v113
	v_fmac_f16_e32 v46, 0x34f2, v65
	v_fmac_f16_e32 v75, 0x34f2, v61
	v_fmac_f16_e32 v27, 0x34f2, v61
	v_fmac_f16_e32 v71, 0x34f2, v60
	v_fmac_f16_e32 v28, 0x34f2, v60
	v_fmac_f16_e32 v49, 0xb8b4, v48
	v_fmac_f16_e32 v32, 0x38b4, v48
	v_fmac_f16_e32 v77, 0x34f2, v68
	v_fmac_f16_e32 v89, 0x34f2, v68
	v_fmac_f16_e32 v114, 0x38b4, v17
	v_fmac_f16_e32 v55, 0xb8b4, v23
	v_fmac_f16_e32 v111, 0x38b4, v23
	v_fmac_f16_e32 v67, 0xb8b4, v54
	v_fmac_f16_e32 v104, 0x38b4, v54
	v_fmac_f16_e32 v15, 0xb8b4, v52
	v_fmac_f16_e32 v92, 0x38b4, v52
	v_fmamk_f16 v52, v79, 0xbb9c, v85
	v_fmamk_f16 v54, v80, 0x3b9c, v86
	v_fmac_f16_e32 v76, 0x34f2, v58
	v_fmac_f16_e32 v84, 0x34f2, v58
	;; [unrolled: 1-line block ×4, first 2 shown]
	v_pk_add_f16 v11, v7, v9
	v_pk_add_f16 v7, v7, v9 neg_lo:[0,1] neg_hi:[0,1]
	v_fmac_f16_e32 v25, 0x34f2, v106
	v_fmac_f16_e32 v53, 0x34f2, v90
	;; [unrolled: 1-line block ×4, first 2 shown]
	v_mul_f16_e32 v9, 0x3a79, v72
	v_mul_f16_e32 v13, 0xb8b4, v72
	;; [unrolled: 1-line block ×5, first 2 shown]
	v_fmac_f16_e32 v88, 0x34f2, v59
	v_fmac_f16_e32 v98, 0x34f2, v106
	v_mul_f16_e32 v59, 0xbb9c, v69
	v_add_f16_e32 v109, v56, v109
	v_add_f16_e32 v103, v103, v105
	v_add_f16_e32 v100, v100, v101
	v_add_f16_e32 v91, v91, v94
	v_fmac_f16_e32 v74, 0x34f2, v63
	v_fmac_f16_e32 v42, 0x34f2, v63
	;; [unrolled: 1-line block ×13, first 2 shown]
	v_mul_f16_e32 v17, 0x3a79, v75
	v_mul_f16_e32 v23, 0xb8b4, v75
	;; [unrolled: 1-line block ×8, first 2 shown]
	v_fmac_f16_e32 v52, 0xb8b4, v80
	v_fmac_f16_e32 v54, 0xb8b4, v79
	;; [unrolled: 1-line block ×6, first 2 shown]
	v_mul_f16_e32 v25, 0x3b9c, v53
	v_fma_f16 v50, v41, 0x3b9c, -v60
	v_mul_f16_e32 v41, 0x34f2, v41
	v_fmac_f16_e32 v59, 0x34f2, v53
	v_mul_f16_e32 v53, 0x3a79, v98
	v_mul_u32_u24_e32 v118, 10, v1
	v_fmac_f16_e32 v85, 0x38b4, v80
	v_fmac_f16_e32 v86, 0x38b4, v79
	v_fmac_f16_e32 v67, 0x34f2, v109
	v_fmac_f16_e32 v66, 0x34f2, v103
	v_fmac_f16_e32 v15, 0x34f2, v100
	v_fmac_f16_e32 v19, 0x34f2, v91
	v_mul_f16_e32 v72, 0x3a79, v88
	v_fmac_f16_e32 v17, 0x38b4, v51
	v_fmac_f16_e32 v23, 0x3a79, v51
	v_fma_f16 v51, v98, 0x38b4, -v61
	v_fmac_f16_e32 v62, 0x34f2, v49
	v_mul_f16_e32 v49, 0x3b9c, v49
	v_fma_f16 v60, v32, 0x3b9c, -v63
	v_mul_f16_e32 v32, 0x34f2, v32
	v_fma_f16 v61, v81, 0x38b4, -v64
	v_mul_f16_e32 v63, 0x3a79, v81
	v_fmac_f16_e32 v65, 0x34f2, v55
	v_mul_f16_e32 v55, 0x3b9c, v55
	v_fma_f16 v64, v111, 0x3b9c, -v68
	v_mul_f16_e32 v68, 0x34f2, v111
	v_mul_f16_e32 v75, 0x3a79, v114
	v_fmac_f16_e32 v40, 0x34f2, v103
	v_fmac_f16_e32 v52, 0x34f2, v87
	;; [unrolled: 1-line block ×4, first 2 shown]
	v_fma_f16 v41, v47, 0xbb9c, -v41
	v_fmac_f16_e32 v104, 0x34f2, v109
	v_fma_f16 v46, v46, 0xb8b4, -v53
	v_lshl_add_u32 v118, v118, 2, 0
	v_fmac_f16_e32 v92, 0x34f2, v100
	v_fmac_f16_e32 v31, 0x34f2, v91
	;; [unrolled: 1-line block ×4, first 2 shown]
	v_fma_f16 v72, v114, 0x38b4, -v72
	v_add_f16_e32 v47, v112, v9
	v_sub_f16_e32 v9, v112, v9
	v_add_f16_e32 v53, v45, v50
	v_sub_f16_e32 v45, v45, v50
	;; [unrolled: 2-line block ×5, first 2 shown]
	v_fmac_f16_e32 v49, 0x34f2, v71
	v_fma_f16 v28, v28, 0xbb9c, -v32
	v_fma_f16 v27, v27, 0xb8b4, -v63
	v_add_f16_e32 v32, v74, v17
	v_add_f16_e32 v63, v43, v60
	v_sub_f16_e32 v43, v43, v60
	v_add_f16_e32 v60, v42, v61
	v_sub_f16_e32 v42, v42, v61
	;; [unrolled: 2-line block ×4, first 2 shown]
	v_fmac_f16_e32 v55, 0x34f2, v77
	v_fma_f16 v62, v89, 0xbb9c, -v68
	v_fma_f16 v66, v88, 0xb8b4, -v75
	v_sub_f16_e32 v17, v74, v17
	v_add_f16_e32 v68, v76, v57
	v_sub_f16_e32 v57, v76, v57
	v_add_f16_e32 v74, v52, v58
	;; [unrolled: 2-line block ×4, first 2 shown]
	v_add_f16_e32 v75, v40, v41
	v_sub_f16_e32 v40, v40, v41
	v_add_f16_e32 v41, v104, v46
	v_sub_f16_e32 v25, v115, v25
	v_add_nc_u32_e32 v56, 0x960, v118
	v_pk_add_f16 v48, v120, v30
	v_add_f16_e32 v69, v97, v64
	v_sub_f16_e32 v64, v97, v64
	v_add_f16_e32 v71, v84, v72
	v_sub_f16_e32 v72, v84, v72
	v_sub_f16_e32 v46, v104, v46
	v_add_f16_e32 v76, v70, v49
	v_sub_f16_e32 v49, v70, v49
	v_add_f16_e32 v70, v31, v28
	;; [unrolled: 2-line block ×6, first 2 shown]
	v_sub_f16_e32 v66, v85, v66
	v_pack_b32_f16 v9, v9, v13
	v_pack_b32_f16 v13, v32, v61
	v_pk_add_f16 v21, v119, v29
	v_pack_b32_f16 v47, v47, v51
	v_pack_b32_f16 v32, v57, v52
	;; [unrolled: 1-line block ×4, first 2 shown]
	v_pk_add_f16 v29, v119, v29 neg_lo:[0,1] neg_hi:[0,1]
	v_pack_b32_f16 v41, v50, v41
	v_pack_b32_f16 v25, v25, v59
	v_add_nc_u32_e32 v107, 0x968, v118
	v_add_nc_u32_e32 v105, 0x970, v118
	v_add_nc_u32_e32 v108, 0x978, v118
	v_add_nc_u32_e32 v102, 0x980, v118
	v_add_nc_u32_e32 v93, 0x12c0, v118
	v_add_nc_u32_e32 v101, 0x12c8, v118
	v_add_nc_u32_e32 v99, 0x12d0, v118
	v_add_nc_u32_e32 v94, 0x12d8, v118
	v_add_nc_u32_e32 v96, 0x12e0, v118
	global_wb scope:SCOPE_SE
	s_barrier_signal -1
	s_barrier_wait -1
	global_inv scope:SCOPE_SE
	v_pk_add_f16 v30, v120, v30 neg_lo:[0,1] neg_hi:[0,1]
	v_pack_b32_f16 v15, v17, v15
	v_pack_b32_f16 v17, v68, v74
	;; [unrolled: 1-line block ×16, first 2 shown]
	ds_store_2addr_b32 v56, v48, v13 offset1:1
	ds_store_2addr_b32 v118, v21, v47 offset1:1
	ds_store_2addr_b32 v118, v52, v51 offset0:2 offset1:3
	ds_store_2addr_b32 v118, v41, v29 offset0:4 offset1:5
	;; [unrolled: 1-line block ×4, first 2 shown]
	ds_store_2addr_b32 v107, v23, v45 offset1:1
	ds_store_2addr_b32 v105, v31, v30 offset1:1
	;; [unrolled: 1-line block ×9, first 2 shown]
	s_and_saveexec_b32 s1, s0
	s_cbranch_execz .LBB0_21
; %bb.20:
	v_lshrrev_b32_e32 v7, 16, v22
	v_lshrrev_b32_e32 v9, 16, v14
	;; [unrolled: 1-line block ×8, first 2 shown]
	v_sub_f16_e32 v40, v10, v16
	v_sub_f16_e32 v47, v24, v18
	v_add_f16_e32 v17, v9, v11
	v_lshrrev_b32_e32 v19, 16, v20
	v_sub_f16_e32 v43, v29, v23
	v_sub_f16_e32 v44, v32, v25
	v_add_f16_e32 v40, v47, v40
	v_add_f16_e32 v47, v7, v13
	;; [unrolled: 1-line block ×3, first 2 shown]
	v_lshrrev_b32_e32 v31, 16, v26
	v_add_f16_e32 v51, v29, v32
	v_add_f16_e32 v53, v24, v10
	v_sub_f16_e32 v27, v22, v8
	v_fma_f16 v17, -0.5, v17, v19
	v_add_f16_e32 v28, v18, v16
	v_add_f16_e32 v43, v43, v44
	v_sub_f16_e32 v44, v14, v12
	v_fmac_f16_e32 v19, -0.5, v47
	v_fma_f16 v30, -0.5, v30, v31
	v_sub_f16_e32 v49, v23, v25
	v_fmac_f16_e32 v31, -0.5, v51
	v_fma_f16 v51, -0.5, v53, v26
	v_sub_f16_e32 v15, v7, v9
	v_sub_f16_e32 v21, v13, v11
	v_fma_f16 v28, -0.5, v28, v26
	v_sub_f16_e32 v42, v29, v32
	v_fmamk_f16 v50, v27, 0x3b9c, v17
	v_fmamk_f16 v55, v44, 0xbb9c, v19
	v_fmac_f16_e32 v19, 0x3b9c, v44
	v_fmac_f16_e32 v17, 0xbb9c, v27
	v_sub_f16_e32 v41, v24, v10
	v_sub_f16_e32 v45, v18, v16
	v_fmamk_f16 v53, v49, 0x3b9c, v51
	v_fmac_f16_e32 v51, 0xbb9c, v49
	v_fmamk_f16 v48, v42, 0xbb9c, v28
	v_add_f16_e32 v15, v15, v21
	v_fmac_f16_e32 v50, 0x38b4, v44
	v_fmac_f16_e32 v55, 0x38b4, v27
	;; [unrolled: 1-line block ×5, first 2 shown]
	v_add_f16_e32 v27, v14, v12
	v_fmamk_f16 v46, v41, 0x3b9c, v30
	v_sub_f16_e32 v47, v16, v10
	v_sub_f16_e32 v23, v23, v29
	;; [unrolled: 1-line block ×3, first 2 shown]
	v_fmamk_f16 v29, v45, 0xbb9c, v31
	v_sub_f16_e32 v32, v18, v24
	v_fmac_f16_e32 v53, 0xb8b4, v42
	v_fmac_f16_e32 v31, 0x3b9c, v45
	v_fmac_f16_e32 v51, 0x38b4, v42
	v_fmac_f16_e32 v30, 0xbb9c, v41
	v_add_f16_e32 v42, v22, v8
	v_fmac_f16_e32 v48, 0xb8b4, v49
	v_fmac_f16_e32 v50, 0x34f2, v15
	v_sub_f16_e32 v52, v9, v7
	v_fmac_f16_e32 v28, 0x38b4, v49
	v_fmac_f16_e32 v17, 0x34f2, v15
	v_fma_f16 v15, -0.5, v27, v20
	v_sub_f16_e32 v7, v7, v13
	v_fmac_f16_e32 v46, 0x38b4, v45
	v_sub_f16_e32 v54, v11, v13
	v_add_f16_e32 v23, v23, v25
	v_fmac_f16_e32 v29, 0x38b4, v41
	v_add_f16_e32 v25, v32, v47
	v_fmac_f16_e32 v31, 0xb8b4, v41
	v_fmac_f16_e32 v30, 0xb8b4, v45
	v_sub_f16_e32 v9, v9, v11
	v_pk_add_f16 v11, v20, v22
	v_fmac_f16_e32 v20, -0.5, v42
	v_fmac_f16_e32 v48, 0x34f2, v40
	v_fmac_f16_e32 v28, 0x34f2, v40
	v_sub_f16_e32 v27, v8, v12
	v_sub_f16_e32 v40, v22, v14
	v_fmamk_f16 v41, v7, 0xbb9c, v15
	v_pk_add_f16 v24, v26, v24
	v_fmac_f16_e32 v15, 0x3b9c, v7
	v_fmac_f16_e32 v46, 0x34f2, v43
	;; [unrolled: 1-line block ×7, first 2 shown]
	v_sub_f16_e32 v42, v12, v8
	v_sub_f16_e32 v22, v14, v22
	v_fmamk_f16 v43, v9, 0x3b9c, v20
	v_fmac_f16_e32 v20, 0xbb9c, v9
	v_mul_f16_e32 v13, 0xb8b4, v28
	v_add_f16_e32 v27, v40, v27
	v_fmac_f16_e32 v41, 0xb8b4, v9
	v_fmac_f16_e32 v15, 0x38b4, v9
	v_mul_f16_e32 v9, 0x3a79, v28
	v_pk_add_f16 v11, v11, v14
	v_pk_add_f16 v14, v24, v18
	v_add_f16_e32 v32, v52, v54
	v_mul_f16_e32 v47, 0x34f2, v29
	v_mul_f16_e32 v23, 0xbb9c, v51
	v_add_f16_e32 v22, v22, v42
	v_fmac_f16_e32 v43, 0xb8b4, v7
	v_mul_f16_e32 v42, 0x34f2, v53
	v_fmac_f16_e32 v20, 0x38b4, v7
	v_mul_f16_e32 v7, 0x3b9c, v31
	v_mul_f16_e32 v21, 0x3a79, v46
	;; [unrolled: 1-line block ×3, first 2 shown]
	v_fmac_f16_e32 v13, 0x3a79, v30
	v_fmac_f16_e32 v15, 0x34f2, v27
	;; [unrolled: 1-line block ×3, first 2 shown]
	v_pk_add_f16 v11, v11, v12
	v_pk_add_f16 v12, v14, v16
	v_fmac_f16_e32 v55, 0x34f2, v32
	v_fma_f16 v25, v53, 0xbb9c, -v47
	v_fmac_f16_e32 v19, 0x34f2, v32
	v_fmac_f16_e32 v23, 0x34f2, v31
	;; [unrolled: 1-line block ×3, first 2 shown]
	v_fma_f16 v28, v29, 0x3b9c, -v42
	v_fmac_f16_e32 v20, 0x34f2, v22
	v_fmac_f16_e32 v7, 0x34f2, v51
	v_fma_f16 v21, v48, 0xb8b4, -v21
	v_fmac_f16_e32 v41, 0x34f2, v27
	v_fma_f16 v40, v46, 0x38b4, -v40
	v_sub_f16_e32 v44, v17, v13
	v_sub_f16_e32 v24, v15, v9
	v_add_f16_e32 v13, v17, v13
	v_pk_add_f16 v8, v11, v8
	v_pk_add_f16 v10, v12, v10
	v_add_f16_e32 v9, v15, v9
	v_sub_f16_e32 v18, v20, v7
	v_add_f16_e32 v14, v55, v25
	v_add_f16_e32 v16, v19, v23
	;; [unrolled: 1-line block ×4, first 2 shown]
	v_sub_f16_e32 v47, v50, v21
	v_add_f16_e32 v21, v50, v21
	v_add_f16_e32 v11, v41, v40
	v_sub_f16_e32 v32, v19, v23
	v_sub_f16_e32 v52, v55, v25
	;; [unrolled: 1-line block ×4, first 2 shown]
	v_pk_add_f16 v15, v8, v10
	v_add_nc_u32_e32 v17, 0x12c0, v56
	v_pack_b32_f16 v9, v9, v13
	v_add_nc_u32_e32 v13, 0x12c8, v56
	v_pack_b32_f16 v12, v12, v14
	v_pack_b32_f16 v7, v7, v16
	v_add_nc_u32_e32 v14, 0x12d0, v56
	v_pk_add_f16 v8, v8, v10 neg_lo:[0,1] neg_hi:[0,1]
	v_pack_b32_f16 v10, v11, v21
	v_add_nc_u32_e32 v11, 0x12d8, v56
	v_pack_b32_f16 v16, v24, v44
	v_pack_b32_f16 v18, v18, v32
	v_add_nc_u32_e32 v19, 0x12e0, v56
	v_pack_b32_f16 v20, v26, v47
	v_pack_b32_f16 v21, v22, v52
	ds_store_2addr_b32 v17, v15, v9 offset1:1
	ds_store_2addr_b32 v13, v7, v12 offset1:1
	;; [unrolled: 1-line block ×5, first 2 shown]
.LBB0_21:
	s_wait_alu 0xfffe
	s_or_b32 exec_lo, exec_lo, s1
	v_and_b32_e32 v7, 0xff, v1
	v_add_nc_u32_e32 v14, 60, v1
	v_add_nc_u16 v17, v1, 0x78
	v_add_nc_u16 v19, v1, 0xb4
	global_wb scope:SCOPE_SE
	s_wait_dscnt 0x0
	v_mul_lo_u16 v7, 0xcd, v7
	v_and_b32_e32 v8, 0xff, v14
	v_and_b32_e32 v18, 0xff, v17
	s_barrier_signal -1
	s_barrier_wait -1
	v_lshrrev_b16 v23, 11, v7
	v_mul_lo_u16 v8, 0xcd, v8
	v_mul_lo_u16 v9, 0xcd, v18
	global_inv scope:SCOPE_SE
	v_and_b32_e32 v20, 0xff, v19
	v_mul_lo_u16 v7, v23, 10
	v_lshrrev_b16 v24, 11, v8
	v_lshrrev_b16 v26, 11, v9
	v_add_nc_u32_e32 v15, 0xf0, v1
	v_mul_lo_u16 v10, 0xcd, v20
	v_sub_nc_u16 v7, v1, v7
	v_mul_lo_u16 v8, v24, 10
	v_mul_lo_u16 v9, v26, 10
	v_and_b32_e32 v21, 0xffff, v15
	v_lshrrev_b16 v28, 11, v10
	v_and_b32_e32 v25, 0xff, v7
	v_sub_nc_u16 v8, v14, v8
	v_sub_nc_u16 v9, v17, v9
	v_mul_u32_u24_e32 v11, 0xcccd, v21
	v_mul_lo_u16 v10, v28, 10
	v_mul_u32_u24_e32 v7, 5, v25
	v_and_b32_e32 v27, 0xff, v8
	v_and_b32_e32 v30, 0xff, v9
	v_lshrrev_b32_e32 v31, 19, v11
	v_sub_nc_u16 v10, v19, v10
	v_lshlrev_b32_e32 v7, 2, v7
	v_mul_u32_u24_e32 v8, 5, v27
	v_mul_u32_u24_e32 v9, 5, v30
	v_mul_lo_u16 v11, v31, 10
	v_and_b32_e32 v29, 0xff, v10
	s_clause 0x1
	global_load_b128 v[42:45], v7, s[8:9]
	global_load_b32 v98, v7, s[8:9] offset:16
	v_lshlrev_b32_e32 v8, 2, v8
	v_lshlrev_b32_e32 v9, 2, v9
	v_mul_u32_u24_e32 v10, 5, v29
	v_sub_nc_u16 v11, v15, v11
	v_add_nc_u32_e32 v16, 0x12c, v1
	s_clause 0x3
	global_load_b128 v[46:49], v8, s[8:9]
	global_load_b32 v99, v8, s[8:9] offset:16
	global_load_b128 v[50:53], v9, s[8:9]
	global_load_b32 v100, v9, s[8:9] offset:16
	v_lshlrev_b32_e32 v10, 2, v10
	v_and_b32_e32 v32, 0xffff, v11
	v_and_b32_e32 v22, 0xffff, v16
	v_add_nc_u32_e32 v13, 0xa00, v0
	v_add_nc_u32_e32 v12, 0x600, v0
	s_clause 0x1
	global_load_b128 v[54:57], v10, s[8:9]
	global_load_b32 v101, v10, s[8:9] offset:16
	v_mul_u32_u24_e32 v11, 5, v32
	v_mul_u32_u24_e32 v7, 0xcccd, v22
	v_and_b32_e32 v23, 0xffff, v23
	v_lshlrev_b32_e32 v25, 2, v25
	v_and_b32_e32 v24, 0xffff, v24
	v_lshlrev_b32_e32 v11, 2, v11
	v_lshrrev_b32_e32 v40, 19, v7
	v_mul_u32_u24_e32 v23, 0xf0, v23
	v_lshlrev_b32_e32 v27, 2, v27
	v_mul_u32_u24_e32 v24, 0xf0, v24
	global_load_b128 v[58:61], v11, s[8:9]
	v_mul_lo_u16 v7, v40, 10
	v_add3_u32 v23, 0, v23, v25
	v_and_b32_e32 v26, 0xffff, v26
	v_add3_u32 v24, 0, v24, v27
	v_and_b32_e32 v28, 0xffff, v28
	v_sub_nc_u16 v7, v16, v7
	s_delay_alu instid0(VALU_DEP_1) | instskip(NEXT) | instid1(VALU_DEP_1)
	v_and_b32_e32 v41, 0xffff, v7
	v_mul_u32_u24_e32 v7, 5, v41
	s_delay_alu instid0(VALU_DEP_1)
	v_lshlrev_b32_e32 v7, 2, v7
	s_clause 0x2
	global_load_b128 v[62:65], v7, s[8:9]
	global_load_b32 v102, v11, s[8:9] offset:16
	global_load_b32 v103, v7, s[8:9] offset:16
	ds_load_2addr_b32 v[66:67], v0 offset1:60
	ds_load_2addr_b32 v[68:69], v35 offset0:104 offset1:164
	ds_load_2addr_b32 v[70:71], v38 offset0:56 offset1:116
	;; [unrolled: 1-line block ×12, first 2 shown]
	v_add_nc_u32_e32 v11, 0x1e00, v0
	ds_load_2addr_b32 v[88:89], v2 offset0:192 offset1:252
	ds_load_2addr_b32 v[90:91], v33 offset0:40 offset1:100
	;; [unrolled: 1-line block ×5, first 2 shown]
	global_wb scope:SCOPE_SE
	s_wait_loadcnt_dscnt 0x0
	s_barrier_signal -1
	s_barrier_wait -1
	global_inv scope:SCOPE_SE
	v_lshrrev_b32_e32 v112, 16, v78
	v_lshrrev_b32_e32 v106, 16, v70
	;; [unrolled: 1-line block ×13, first 2 shown]
	s_delay_alu instid0(VALU_DEP_4) | instskip(NEXT) | instid1(VALU_DEP_4)
	v_mul_f16_e32 v116, v68, v111
	v_mul_f16_e32 v118, v78, v113
	;; [unrolled: 1-line block ×4, first 2 shown]
	s_delay_alu instid0(VALU_DEP_4)
	v_fmac_f16_e32 v116, v105, v42
	v_mul_f16_e32 v105, v70, v115
	v_fmac_f16_e32 v118, v112, v43
	v_mul_f16_e32 v112, v72, v117
	v_mul_f16_e32 v115, v106, v115
	;; [unrolled: 1-line block ×3, first 2 shown]
	v_fmac_f16_e32 v105, v106, v44
	v_lshrrev_b32_e32 v106, 16, v46
	v_fmac_f16_e32 v112, v107, v45
	v_lshrrev_b32_e32 v107, 16, v47
	v_fma_f16 v68, v68, v42, -v111
	v_fma_f16 v70, v70, v44, -v115
	v_mul_f16_e32 v42, v109, v106
	v_lshrrev_b32_e32 v44, 16, v48
	v_fma_f16 v78, v78, v43, -v113
	v_fma_f16 v72, v72, v45, -v117
	v_lshrrev_b32_e32 v43, 16, v73
	v_mul_f16_e32 v106, v69, v106
	v_mul_f16_e32 v45, v114, v107
	v_fma_f16 v69, v69, v46, -v42
	v_lshrrev_b32_e32 v42, 16, v49
	v_mul_f16_e32 v107, v79, v107
	v_mul_f16_e32 v111, v110, v44
	;; [unrolled: 1-line block ×3, first 2 shown]
	v_fma_f16 v79, v79, v47, -v45
	v_mul_f16_e32 v44, v43, v42
	v_mul_f16_e32 v117, v73, v42
	v_fma_f16 v71, v71, v48, -v111
	v_fmac_f16_e32 v107, v114, v47
	v_lshrrev_b32_e32 v47, 16, v50
	v_fmac_f16_e32 v113, v110, v48
	v_lshrrev_b32_e32 v48, 16, v51
	v_lshrrev_b32_e32 v45, 16, v76
	;; [unrolled: 1-line block ×3, first 2 shown]
	v_fma_f16 v73, v73, v49, -v44
	v_fmac_f16_e32 v106, v109, v46
	v_lshrrev_b32_e32 v46, 16, v94
	v_fmac_f16_e32 v117, v43, v49
	v_mul_f16_e32 v109, v94, v47
	v_lshrrev_b32_e32 v49, 16, v52
	v_mul_f16_e32 v114, v76, v48
	v_lshrrev_b32_e32 v115, 16, v82
	v_lshrrev_b32_e32 v43, 16, v95
	;; [unrolled: 1-line block ×3, first 2 shown]
	v_mul_f16_e32 v47, v46, v47
	v_fmac_f16_e32 v109, v46, v50
	v_mul_f16_e32 v119, v80, v49
	v_mul_f16_e32 v46, v45, v48
	v_fmac_f16_e32 v114, v45, v51
	v_mul_f16_e32 v45, v111, v49
	v_lshrrev_b32_e32 v48, 16, v54
	v_mul_f16_e32 v120, v82, v110
	v_fmac_f16_e32 v119, v111, v52
	v_mul_f16_e32 v49, v115, v110
	v_lshrrev_b32_e32 v110, 16, v55
	v_fma_f16 v50, v94, v50, -v47
	v_fma_f16 v52, v80, v52, -v45
	v_mul_f16_e32 v45, v43, v48
	v_lshrrev_b32_e32 v47, 16, v56
	v_lshrrev_b32_e32 v42, 16, v77
	;; [unrolled: 1-line block ×3, first 2 shown]
	v_fmac_f16_e32 v120, v115, v53
	v_fma_f16 v51, v76, v51, -v46
	v_fma_f16 v53, v82, v53, -v49
	v_lshrrev_b32_e32 v46, 16, v83
	v_fma_f16 v80, v95, v54, -v45
	v_lshrrev_b32_e32 v45, 16, v57
	v_mul_f16_e32 v82, v77, v110
	v_mul_f16_e32 v94, v81, v47
	;; [unrolled: 1-line block ×6, first 2 shown]
	v_lshrrev_b32_e32 v110, 16, v86
	v_fmac_f16_e32 v82, v42, v55
	v_lshrrev_b32_e32 v42, 16, v58
	v_fmac_f16_e32 v94, v44, v56
	v_lshrrev_b32_e32 v44, 16, v59
	v_fma_f16 v81, v81, v56, -v49
	v_mul_f16_e32 v111, v83, v45
	v_fma_f16 v83, v83, v57, -v47
	v_lshrrev_b32_e32 v45, 16, v88
	v_lshrrev_b32_e32 v47, 16, v90
	v_fmac_f16_e32 v76, v43, v54
	v_mul_f16_e32 v49, v86, v42
	v_lshrrev_b32_e32 v54, 16, v60
	v_mul_f16_e32 v56, v88, v44
	v_mul_f16_e32 v42, v110, v42
	v_fma_f16 v77, v77, v55, -v48
	v_lshrrev_b32_e32 v48, 16, v75
	v_lshrrev_b32_e32 v43, 16, v92
	v_fmac_f16_e32 v111, v46, v57
	v_lshrrev_b32_e32 v55, 16, v61
	v_fmac_f16_e32 v49, v110, v58
	v_mul_f16_e32 v57, v90, v54
	v_mul_f16_e32 v44, v45, v44
	v_fmac_f16_e32 v56, v45, v59
	v_mul_f16_e32 v45, v47, v54
	v_fma_f16 v58, v86, v58, -v42
	v_lshrrev_b32_e32 v42, 16, v99
	v_lshrrev_b32_e32 v46, 16, v98
	v_mul_f16_e32 v110, v92, v55
	v_fmac_f16_e32 v57, v47, v60
	v_lshrrev_b32_e32 v47, 16, v85
	v_mul_f16_e32 v54, v43, v55
	v_fma_f16 v60, v90, v60, -v45
	v_mul_f16_e32 v45, v48, v42
	v_mul_f16_e32 v86, v75, v42
	v_lshrrev_b32_e32 v42, 16, v101
	v_lshrrev_b32_e32 v95, 16, v84
	v_fmac_f16_e32 v110, v43, v61
	v_fma_f16 v54, v92, v61, -v54
	v_mul_f16_e32 v43, v108, v46
	v_lshrrev_b32_e32 v61, 16, v100
	v_fma_f16 v75, v75, v99, -v45
	v_mul_f16_e32 v45, v47, v42
	v_mul_f16_e32 v55, v74, v46
	v_fma_f16 v59, v88, v59, -v44
	v_lshrrev_b32_e32 v44, 16, v87
	v_lshrrev_b32_e32 v46, 16, v89
	v_fma_f16 v74, v74, v98, -v43
	v_mul_f16_e32 v90, v84, v61
	v_fmac_f16_e32 v86, v48, v99
	v_mul_f16_e32 v43, v95, v61
	v_lshrrev_b32_e32 v48, 16, v62
	v_mul_f16_e32 v61, v85, v42
	v_fma_f16 v85, v85, v101, -v45
	v_lshrrev_b32_e32 v45, 16, v63
	v_fma_f16 v84, v84, v100, -v43
	v_mul_f16_e32 v42, v44, v48
	v_mul_f16_e32 v43, v87, v48
	v_fmac_f16_e32 v55, v108, v98
	v_mul_f16_e32 v48, v46, v45
	v_lshrrev_b32_e32 v92, 16, v93
	v_fma_f16 v42, v87, v62, -v42
	v_lshrrev_b32_e32 v87, 16, v65
	v_mul_f16_e32 v98, v89, v45
	v_fma_f16 v89, v89, v63, -v48
	v_lshrrev_b32_e32 v48, 16, v102
	v_fmac_f16_e32 v90, v95, v100
	v_lshrrev_b32_e32 v95, 16, v96
	v_fmac_f16_e32 v61, v47, v101
	v_mul_f16_e32 v99, v92, v87
	v_mul_f16_e32 v101, v96, v48
	v_lshrrev_b32_e32 v88, 16, v91
	v_lshrrev_b32_e32 v47, 16, v64
	v_mul_f16_e32 v100, v95, v48
	v_mul_f16_e32 v48, v93, v87
	v_fma_f16 v87, v93, v65, -v99
	v_lshrrev_b32_e32 v99, 16, v97
	v_fmac_f16_e32 v101, v95, v102
	v_lshrrev_b32_e32 v95, 16, v103
	v_mul_f16_e32 v45, v88, v47
	v_mul_f16_e32 v47, v91, v47
	v_fmac_f16_e32 v98, v46, v63
	v_fma_f16 v96, v96, v102, -v100
	v_mul_f16_e32 v63, v99, v95
	v_mul_f16_e32 v46, v97, v95
	v_fma_f16 v45, v91, v64, -v45
	v_fmac_f16_e32 v47, v88, v64
	v_fmac_f16_e32 v48, v92, v65
	v_fma_f16 v63, v97, v103, -v63
	v_fmac_f16_e32 v46, v99, v103
	v_add_f16_e32 v64, v66, v78
	v_add_f16_e32 v65, v78, v72
	v_add_f16_e32 v92, v104, v118
	v_add_f16_e32 v95, v118, v112
	v_add_f16_e32 v97, v68, v70
	v_add_f16_e32 v99, v70, v74
	v_sub_f16_e32 v102, v105, v55
	v_add_f16_e32 v103, v116, v105
	v_add_f16_e32 v105, v105, v55
	v_lshrrev_b32_e32 v91, 16, v67
	v_lshrrev_b32_e32 v93, 16, v9
	v_sub_f16_e32 v88, v118, v112
	v_sub_f16_e32 v78, v78, v72
	;; [unrolled: 1-line block ×3, first 2 shown]
	v_add_f16_e32 v64, v64, v72
	v_fma_f16 v65, -0.5, v65, v66
	v_add_f16_e32 v66, v92, v112
	v_fmac_f16_e32 v104, -0.5, v95
	v_add_f16_e32 v72, v97, v74
	v_fmac_f16_e32 v68, -0.5, v99
	v_add_f16_e32 v55, v103, v55
	v_fmac_f16_e32 v116, -0.5, v105
	v_add_f16_e32 v92, v79, v73
	v_add_f16_e32 v99, v107, v117
	;; [unrolled: 1-line block ×5, first 2 shown]
	v_sub_f16_e32 v95, v107, v117
	v_add_f16_e32 v97, v91, v107
	v_sub_f16_e32 v79, v79, v73
	v_add_f16_e32 v103, v69, v71
	v_sub_f16_e32 v107, v113, v86
	v_fmamk_f16 v108, v88, 0x3aee, v65
	v_fmac_f16_e32 v65, 0xbaee, v88
	v_fmamk_f16 v88, v78, 0xbaee, v104
	v_fmac_f16_e32 v104, 0x3aee, v78
	;; [unrolled: 2-line block ×4, first 2 shown]
	v_add_f16_e32 v70, v64, v72
	v_sub_f16_e32 v64, v64, v72
	v_add_f16_e32 v72, v66, v55
	v_sub_f16_e32 v55, v66, v55
	;; [unrolled: 2-line block ×3, first 2 shown]
	v_fmac_f16_e32 v67, -0.5, v92
	v_add_f16_e32 v92, v51, v53
	v_sub_f16_e32 v113, v114, v120
	v_fmac_f16_e32 v91, -0.5, v99
	v_add_f16_e32 v99, v93, v114
	v_add_f16_e32 v114, v114, v120
	v_fmac_f16_e32 v69, -0.5, v105
	v_add_f16_e32 v105, v52, v84
	v_fmac_f16_e32 v106, -0.5, v112
	v_add_f16_e32 v112, v109, v119
	v_add_f16_e32 v115, v119, v90
	v_add_f16_e32 v73, v74, v73
	v_add_f16_e32 v74, v9, v51
	v_add_f16_e32 v97, v97, v117
	v_sub_f16_e32 v51, v51, v53
	v_add_f16_e32 v75, v103, v75
	v_add_f16_e32 v103, v50, v52
	;; [unrolled: 1-line block ×3, first 2 shown]
	v_sub_f16_e32 v86, v119, v90
	v_sub_f16_e32 v52, v52, v84
	v_fma_f16 v9, -0.5, v92, v9
	v_fmac_f16_e32 v93, -0.5, v114
	v_fmac_f16_e32 v50, -0.5, v105
	v_add_f16_e32 v90, v112, v90
	v_fmac_f16_e32 v109, -0.5, v115
	v_mul_f16_e32 v92, 0x3aee, v102
	v_mul_f16_e32 v105, -0.5, v116
	v_fmamk_f16 v112, v95, 0x3aee, v67
	v_fmac_f16_e32 v67, 0xbaee, v95
	v_fmamk_f16 v95, v79, 0xbaee, v91
	v_fmac_f16_e32 v91, 0x3aee, v79
	v_fmamk_f16 v79, v107, 0x3aee, v69
	v_fmac_f16_e32 v69, 0xbaee, v107
	v_fmamk_f16 v107, v71, 0xbaee, v106
	v_add_f16_e32 v53, v74, v53
	v_add_f16_e32 v74, v99, v120
	v_add_f16_e32 v84, v103, v84
	v_mul_f16_e32 v99, -0.5, v68
	v_mul_f16_e32 v103, 0xbaee, v78
	v_fmac_f16_e32 v106, 0x3aee, v71
	v_add_f16_e32 v114, v97, v66
	v_sub_f16_e32 v66, v97, v66
	v_fmamk_f16 v97, v51, 0xbaee, v93
	v_fmac_f16_e32 v93, 0x3aee, v51
	v_fmamk_f16 v51, v86, 0x3aee, v50
	v_fmac_f16_e32 v50, 0xbaee, v86
	;; [unrolled: 2-line block ×3, first 2 shown]
	v_fmac_f16_e32 v92, 0.5, v78
	v_fmac_f16_e32 v105, 0xbaee, v68
	v_mul_f16_e32 v52, 0x3aee, v107
	v_mul_f16_e32 v68, -0.5, v69
	v_mul_f16_e32 v78, 0xbaee, v79
	v_fmac_f16_e32 v103, 0.5, v102
	v_mul_f16_e32 v102, -0.5, v106
	v_fmac_f16_e32 v52, 0.5, v79
	v_mul_f16_e32 v79, -0.5, v109
	v_fmac_f16_e32 v68, 0x3aee, v106
	v_fmac_f16_e32 v78, 0.5, v107
	v_add_f16_e32 v71, v73, v75
	v_sub_f16_e32 v73, v73, v75
	v_fmamk_f16 v75, v113, 0x3aee, v9
	v_fmac_f16_e32 v9, 0xbaee, v113
	v_fmac_f16_e32 v99, 0x3aee, v116
	v_mul_f16_e32 v113, 0x3aee, v86
	v_mul_f16_e32 v115, -0.5, v50
	v_fmac_f16_e32 v102, 0xbaee, v69
	v_add_f16_e32 v69, v67, v68
	v_add_f16_e32 v106, v95, v78
	v_sub_f16_e32 v67, v67, v68
	v_sub_f16_e32 v68, v95, v78
	v_fmac_f16_e32 v79, 0xbaee, v50
	v_add_f16_e32 v95, v74, v90
	v_sub_f16_e32 v74, v74, v90
	v_add_f16_e32 v90, v10, v77
	v_lshrrev_b32_e32 v100, 16, v10
	v_add_f16_e32 v116, v108, v92
	v_sub_f16_e32 v92, v108, v92
	v_add_f16_e32 v108, v65, v99
	v_sub_f16_e32 v65, v65, v99
	;; [unrolled: 2-line block ×4, first 2 shown]
	v_mul_f16_e32 v105, 0xbaee, v51
	v_fmac_f16_e32 v113, 0.5, v51
	v_fmac_f16_e32 v115, 0x3aee, v109
	v_add_f16_e32 v51, v112, v52
	v_add_f16_e32 v107, v91, v102
	v_sub_f16_e32 v52, v112, v52
	v_sub_f16_e32 v78, v91, v102
	v_add_f16_e32 v91, v53, v84
	v_add_f16_e32 v109, v93, v79
	v_sub_f16_e32 v53, v53, v84
	v_add_f16_e32 v84, v77, v83
	v_sub_f16_e32 v79, v93, v79
	v_add_f16_e32 v93, v82, v111
	v_add_f16_e32 v90, v90, v83
	v_add_f16_e32 v112, v81, v85
	v_sub_f16_e32 v77, v77, v83
	v_add_f16_e32 v83, v94, v61
	v_fmac_f16_e32 v105, 0.5, v86
	v_fmac_f16_e32 v10, -0.5, v84
	v_sub_f16_e32 v84, v82, v111
	v_add_f16_e32 v82, v100, v82
	v_fmac_f16_e32 v100, -0.5, v93
	v_add_f16_e32 v93, v80, v81
	v_fmac_f16_e32 v80, -0.5, v112
	v_sub_f16_e32 v112, v94, v61
	v_add_f16_e32 v94, v76, v94
	v_fmac_f16_e32 v76, -0.5, v83
	v_sub_f16_e32 v81, v81, v85
	v_add_f16_e32 v102, v97, v105
	v_sub_f16_e32 v97, v97, v105
	v_fmamk_f16 v105, v84, 0x3aee, v10
	v_fmac_f16_e32 v10, 0xbaee, v84
	v_add_f16_e32 v82, v82, v111
	v_fmamk_f16 v84, v112, 0x3aee, v80
	v_fmamk_f16 v111, v81, 0xbaee, v76
	v_fmac_f16_e32 v80, 0xbaee, v112
	v_fmac_f16_e32 v76, 0x3aee, v81
	v_fmamk_f16 v83, v77, 0xbaee, v100
	v_fmac_f16_e32 v100, 0x3aee, v77
	v_add_f16_e32 v77, v93, v85
	v_mul_f16_e32 v85, -0.5, v80
	v_add_f16_e32 v61, v94, v61
	v_mul_f16_e32 v93, 0xbaee, v84
	v_mul_f16_e32 v94, -0.5, v76
	v_fmac_f16_e32 v43, v44, v62
	v_fmac_f16_e32 v85, 0x3aee, v76
	v_add_f16_e32 v76, v90, v77
	v_fmac_f16_e32 v93, 0.5, v111
	v_fmac_f16_e32 v94, 0xbaee, v80
	v_sub_f16_e32 v77, v90, v77
	v_add_f16_e32 v90, v59, v54
	v_lshrrev_b32_e32 v62, 16, v7
	v_add_f16_e32 v50, v75, v113
	v_sub_f16_e32 v75, v75, v113
	v_mul_f16_e32 v81, 0x3aee, v111
	v_add_f16_e32 v111, v82, v61
	v_add_f16_e32 v112, v83, v93
	;; [unrolled: 1-line block ×3, first 2 shown]
	v_sub_f16_e32 v61, v82, v61
	v_add_f16_e32 v82, v7, v59
	v_fma_f16 v7, -0.5, v90, v7
	v_sub_f16_e32 v83, v83, v93
	v_sub_f16_e32 v90, v100, v94
	v_add_f16_e32 v93, v56, v110
	v_add_f16_e32 v100, v60, v96
	v_fmac_f16_e32 v81, 0.5, v84
	v_add_f16_e32 v84, v10, v85
	v_sub_f16_e32 v10, v10, v85
	v_sub_f16_e32 v85, v56, v110
	v_add_f16_e32 v82, v82, v54
	v_add_f16_e32 v56, v62, v56
	v_fmac_f16_e32 v62, -0.5, v93
	v_sub_f16_e32 v54, v59, v54
	v_add_f16_e32 v59, v57, v101
	v_add_f16_e32 v93, v58, v60
	v_fmac_f16_e32 v58, -0.5, v100
	v_sub_f16_e32 v100, v57, v101
	v_fmamk_f16 v94, v85, 0x3aee, v7
	v_add_f16_e32 v57, v49, v57
	v_fmac_f16_e32 v49, -0.5, v59
	v_sub_f16_e32 v59, v60, v96
	v_fmac_f16_e32 v7, 0xbaee, v85
	v_fmamk_f16 v85, v100, 0x3aee, v58
	v_fmac_f16_e32 v58, 0xbaee, v100
	v_add_f16_e32 v80, v105, v81
	v_sub_f16_e32 v81, v105, v81
	v_fmamk_f16 v60, v54, 0xbaee, v62
	v_fmamk_f16 v105, v59, 0xbaee, v49
	v_fmac_f16_e32 v62, 0x3aee, v54
	v_add_f16_e32 v54, v93, v96
	v_fmac_f16_e32 v49, 0x3aee, v59
	v_mul_f16_e32 v93, -0.5, v58
	v_mul_f16_e32 v96, 0xbaee, v85
	v_lshrrev_b32_e32 v44, 16, v8
	v_add_f16_e32 v56, v56, v110
	v_mul_f16_e32 v59, 0x3aee, v105
	v_add_f16_e32 v57, v57, v101
	v_mul_f16_e32 v100, -0.5, v49
	v_fmac_f16_e32 v93, 0x3aee, v49
	v_add_f16_e32 v49, v82, v54
	v_fmac_f16_e32 v96, 0.5, v105
	v_sub_f16_e32 v54, v82, v54
	v_add_f16_e32 v82, v89, v87
	v_fmac_f16_e32 v59, 0.5, v85
	v_add_f16_e32 v85, v7, v93
	v_add_f16_e32 v101, v56, v57
	;; [unrolled: 1-line block ×3, first 2 shown]
	v_sub_f16_e32 v7, v7, v93
	v_sub_f16_e32 v56, v56, v57
	v_add_f16_e32 v57, v8, v89
	v_fmac_f16_e32 v8, -0.5, v82
	v_sub_f16_e32 v82, v98, v48
	v_sub_f16_e32 v60, v60, v96
	v_add_f16_e32 v93, v98, v48
	v_add_f16_e32 v96, v44, v98
	v_add_f16_e32 v98, v45, v63
	v_add_f16_e32 v57, v57, v87
	v_sub_f16_e32 v87, v89, v87
	v_fmac_f16_e32 v44, -0.5, v93
	v_add_f16_e32 v89, v47, v46
	v_add_f16_e32 v93, v42, v45
	v_fmac_f16_e32 v42, -0.5, v98
	v_sub_f16_e32 v98, v47, v46
	v_add_f16_e32 v47, v43, v47
	v_fmac_f16_e32 v43, -0.5, v89
	v_sub_f16_e32 v45, v45, v63
	v_add_f16_e32 v48, v96, v48
	v_fmamk_f16 v89, v98, 0x3aee, v42
	v_fmac_f16_e32 v42, 0xbaee, v98
	v_add_f16_e32 v46, v47, v46
	v_fmamk_f16 v96, v45, 0xbaee, v43
	v_fmac_f16_e32 v100, 0xbaee, v58
	v_mul_f16_e32 v47, 0xbaee, v89
	v_add_f16_e32 v58, v94, v59
	v_sub_f16_e32 v59, v94, v59
	v_fmamk_f16 v94, v82, 0x3aee, v8
	v_fmac_f16_e32 v8, 0xbaee, v82
	v_fmamk_f16 v82, v87, 0xbaee, v44
	v_fmac_f16_e32 v44, 0x3aee, v87
	v_add_f16_e32 v63, v93, v63
	v_fmac_f16_e32 v43, 0x3aee, v45
	v_mul_f16_e32 v87, -0.5, v42
	v_mul_f16_e32 v45, 0x3aee, v96
	v_fmac_f16_e32 v47, 0.5, v96
	v_add_f16_e32 v96, v48, v46
	v_sub_f16_e32 v46, v48, v46
	v_pack_b32_f16 v25, v70, v72
	v_pack_b32_f16 v48, v116, v99
	v_mul_f16_e32 v93, -0.5, v43
	v_fmac_f16_e32 v87, 0x3aee, v43
	v_add_f16_e32 v43, v57, v63
	v_sub_f16_e32 v57, v57, v63
	v_pack_b32_f16 v63, v108, v103
	v_pack_b32_f16 v55, v64, v55
	ds_store_2addr_b32 v23, v25, v48 offset1:10
	ds_store_2addr_b32 v23, v63, v55 offset0:20 offset1:30
	v_pack_b32_f16 v25, v92, v88
	v_pack_b32_f16 v48, v65, v104
	;; [unrolled: 1-line block ×4, first 2 shown]
	v_add_f16_e32 v86, v9, v115
	v_pack_b32_f16 v55, v69, v107
	ds_store_2addr_b32 v23, v25, v48 offset0:40 offset1:50
	v_mul_u32_u24_e32 v23, 0xf0, v26
	v_lshlrev_b32_e32 v25, 2, v30
	v_pack_b32_f16 v63, v73, v66
	v_sub_f16_e32 v9, v9, v115
	ds_store_2addr_b32 v24, v27, v51 offset1:10
	ds_store_2addr_b32 v24, v55, v63 offset0:20 offset1:30
	v_pack_b32_f16 v26, v52, v68
	v_pack_b32_f16 v27, v67, v78
	v_add3_u32 v23, 0, v23, v25
	v_pack_b32_f16 v25, v91, v95
	v_pack_b32_f16 v30, v50, v102
	;; [unrolled: 1-line block ×4, first 2 shown]
	ds_store_2addr_b32 v24, v26, v27 offset0:40 offset1:50
	v_mul_u32_u24_e32 v24, 0xf0, v28
	v_lshlrev_b32_e32 v26, 2, v29
	ds_store_2addr_b32 v23, v25, v30 offset1:10
	ds_store_2addr_b32 v23, v48, v50 offset0:20 offset1:30
	v_pack_b32_f16 v25, v75, v97
	v_pack_b32_f16 v9, v9, v79
	;; [unrolled: 1-line block ×3, first 2 shown]
	v_add3_u32 v24, 0, v24, v26
	v_pack_b32_f16 v26, v76, v111
	v_add_f16_e32 v110, v62, v100
	ds_store_2addr_b32 v23, v25, v9 offset0:40 offset1:50
	v_mul_u32_u24_e32 v9, 0xf0, v31
	v_lshlrev_b32_e32 v23, 2, v32
	v_fmac_f16_e32 v45, 0.5, v89
	v_pack_b32_f16 v28, v84, v113
	v_pack_b32_f16 v29, v77, v61
	;; [unrolled: 1-line block ×4, first 2 shown]
	v_fmac_f16_e32 v93, 0xbaee, v42
	v_sub_f16_e32 v62, v62, v100
	ds_store_2addr_b32 v24, v26, v27 offset1:10
	ds_store_2addr_b32 v24, v28, v29 offset0:20 offset1:30
	v_add3_u32 v9, 0, v9, v23
	v_pack_b32_f16 v23, v49, v101
	v_pack_b32_f16 v26, v58, v105
	v_add_f16_e32 v42, v94, v45
	v_add_f16_e32 v98, v82, v47
	v_pack_b32_f16 v27, v85, v110
	v_pack_b32_f16 v28, v54, v56
	ds_store_2addr_b32 v24, v25, v10 offset0:40 offset1:50
	v_mul_u32_u24_e32 v10, 0xf0, v40
	v_lshlrev_b32_e32 v24, 2, v41
	v_add_f16_e32 v89, v8, v87
	v_add_f16_e32 v100, v44, v93
	v_sub_f16_e32 v45, v94, v45
	v_sub_f16_e32 v8, v8, v87
	;; [unrolled: 1-line block ×4, first 2 shown]
	ds_store_2addr_b32 v9, v23, v26 offset1:10
	ds_store_2addr_b32 v9, v27, v28 offset0:20 offset1:30
	v_pack_b32_f16 v23, v59, v60
	v_pack_b32_f16 v7, v7, v62
	v_add3_u32 v10, 0, v10, v24
	v_pack_b32_f16 v24, v43, v96
	v_pack_b32_f16 v25, v42, v98
	;; [unrolled: 1-line block ×6, first 2 shown]
	ds_store_2addr_b32 v9, v23, v7 offset0:40 offset1:50
	ds_store_2addr_b32 v10, v24, v25 offset1:10
	ds_store_2addr_b32 v10, v26, v27 offset0:20 offset1:30
	ds_store_2addr_b32 v10, v28, v8 offset0:40 offset1:50
	v_mul_lo_u16 v7, 0x89, v18
	v_mul_u32_u24_e32 v29, 5, v1
	v_mul_lo_u16 v8, 0x89, v20
	global_wb scope:SCOPE_SE
	s_wait_dscnt 0x0
	s_barrier_signal -1
	v_lshrrev_b16 v7, 13, v7
	v_lshlrev_b32_e32 v23, 2, v29
	s_barrier_wait -1
	global_inv scope:SCOPE_SE
	v_lshrrev_b16 v8, 13, v8
	v_mul_lo_u16 v7, v7, 60
	s_clause 0x1
	global_load_b128 v[25:28], v23, s[8:9] offset:200
	global_load_b32 v80, v23, s[8:9] offset:216
	v_mul_u32_u24_e32 v9, 0x8889, v21
	v_mul_lo_u16 v8, v8, 60
	v_sub_nc_u16 v7, v17, v7
	s_delay_alu instid0(VALU_DEP_2) | instskip(NEXT) | instid1(VALU_DEP_2)
	v_sub_nc_u16 v8, v19, v8
	v_and_b32_e32 v17, 0xff, v7
	s_delay_alu instid0(VALU_DEP_2) | instskip(NEXT) | instid1(VALU_DEP_2)
	v_and_b32_e32 v18, 0xff, v8
	v_mul_u32_u24_e32 v7, 5, v17
	v_lshl_add_u32 v17, v17, 2, 0
	s_delay_alu instid0(VALU_DEP_3) | instskip(NEXT) | instid1(VALU_DEP_3)
	v_mul_u32_u24_e32 v8, 5, v18
	v_lshlrev_b32_e32 v7, 2, v7
	v_lshl_add_u32 v18, v18, 2, 0
	s_clause 0x1
	global_load_b128 v[29:32], v7, s[8:9] offset:200
	global_load_b32 v81, v7, s[8:9] offset:216
	v_lshlrev_b32_e32 v7, 2, v8
	v_lshrrev_b32_e32 v8, 21, v9
	s_clause 0x1
	global_load_b128 v[40:43], v7, s[8:9] offset:200
	global_load_b32 v82, v7, s[8:9] offset:216
	v_mul_lo_u16 v8, v8, 60
	s_delay_alu instid0(VALU_DEP_1) | instskip(NEXT) | instid1(VALU_DEP_1)
	v_sub_nc_u16 v8, v15, v8
	v_and_b32_e32 v15, 0xffff, v8
	v_mul_u32_u24_e32 v8, 0x8889, v22
	s_delay_alu instid0(VALU_DEP_2) | instskip(NEXT) | instid1(VALU_DEP_2)
	v_mul_u32_u24_e32 v9, 5, v15
	v_lshrrev_b32_e32 v7, 21, v8
	v_lshl_add_u32 v15, v15, 2, 0
	s_delay_alu instid0(VALU_DEP_3) | instskip(NEXT) | instid1(VALU_DEP_3)
	v_lshlrev_b32_e32 v8, 2, v9
	v_mul_lo_u16 v7, v7, 60
	s_clause 0x1
	global_load_b128 v[44:47], v8, s[8:9] offset:200
	global_load_b32 v83, v8, s[8:9] offset:216
	v_sub_nc_u16 v7, v16, v7
	s_delay_alu instid0(VALU_DEP_1) | instskip(NEXT) | instid1(VALU_DEP_1)
	v_and_b32_e32 v16, 0xffff, v7
	v_mul_u32_u24_e32 v7, 5, v16
	v_lshl_add_u32 v16, v16, 2, 0
	s_delay_alu instid0(VALU_DEP_2)
	v_lshlrev_b32_e32 v7, 2, v7
	s_clause 0x1
	global_load_b128 v[48:51], v7, s[8:9] offset:200
	global_load_b32 v84, v7, s[8:9] offset:216
	ds_load_2addr_b32 v[52:53], v0 offset1:60
	ds_load_2addr_b32 v[19:20], v38 offset0:56 offset1:116
	ds_load_2addr_b32 v[21:22], v33 offset0:160 offset1:220
	;; [unrolled: 1-line block ×17, first 2 shown]
	global_wb scope:SCOPE_SE
	s_wait_loadcnt_dscnt 0x0
	s_barrier_signal -1
	v_lshrrev_b32_e32 v85, 16, v52
	v_lshrrev_b32_e32 v86, 16, v19
	;; [unrolled: 1-line block ×24, first 2 shown]
	s_barrier_wait -1
	global_inv scope:SCOPE_SE
	v_lshrrev_b32_e32 v107, 16, v25
	v_lshrrev_b32_e32 v109, 16, v26
	;; [unrolled: 1-line block ×4, first 2 shown]
	s_delay_alu instid0(VALU_DEP_4) | instskip(NEXT) | instid1(VALU_DEP_4)
	v_mul_f16_e32 v117, v90, v107
	v_mul_f16_e32 v118, v91, v109
	;; [unrolled: 1-line block ×8, first 2 shown]
	v_fma_f16 v57, v57, v25, -v117
	v_fma_f16 v117, v59, v26, -v118
	v_mul_f16_e32 v59, v59, v109
	v_fma_f16 v56, v25, v56, -v112
	v_fma_f16 v58, v26, v58, -v114
	;; [unrolled: 1-line block ×3, first 2 shown]
	v_mul_f16_e32 v114, v92, v110
	v_mul_f16_e32 v116, v19, v110
	;; [unrolled: 1-line block ×4, first 2 shown]
	v_fmac_f16_e32 v115, v26, v108
	v_fmac_f16_e32 v59, v91, v26
	v_lshrrev_b32_e32 v26, 16, v29
	v_mul_f16_e32 v19, v87, v111
	v_fma_f16 v109, v20, v27, -v114
	v_mul_f16_e32 v114, v93, v111
	v_mul_f16_e32 v111, v22, v111
	v_fmac_f16_e32 v116, v86, v27
	v_fmac_f16_e32 v119, v87, v28
	;; [unrolled: 1-line block ×3, first 2 shown]
	v_lshrrev_b32_e32 v27, 16, v30
	v_mul_f16_e32 v87, v60, v26
	v_lshrrev_b32_e32 v91, 16, v32
	v_fma_f16 v118, v21, v28, -v19
	v_fma_f16 v114, v22, v28, -v114
	v_fmac_f16_e32 v107, v90, v25
	v_fmac_f16_e32 v111, v93, v28
	v_lshrrev_b32_e32 v28, 16, v80
	v_lshrrev_b32_e32 v90, 16, v31
	v_mul_f16_e32 v92, v62, v27
	v_mul_f16_e32 v26, v96, v26
	v_fmac_f16_e32 v87, v96, v29
	v_mul_f16_e32 v27, v97, v27
	v_mul_f16_e32 v96, v66, v91
	;; [unrolled: 1-line block ×4, first 2 shown]
	v_fmac_f16_e32 v92, v97, v30
	v_fma_f16 v26, v60, v29, -v26
	v_fmac_f16_e32 v96, v99, v32
	v_fma_f16 v27, v62, v30, -v27
	v_fma_f16 v30, v66, v32, -v91
	v_mul_f16_e32 v32, v88, v28
	v_mul_f16_e32 v60, v94, v28
	v_lshrrev_b32_e32 v62, 16, v81
	v_mul_f16_e32 v90, v98, v90
	v_fmac_f16_e32 v93, v98, v31
	v_mul_f16_e32 v98, v54, v28
	v_mul_f16_e32 v28, v55, v28
	v_fma_f16 v32, v54, v80, -v32
	v_fma_f16 v54, v55, v80, -v60
	v_mul_f16_e32 v55, v68, v62
	v_lshrrev_b32_e32 v60, 16, v40
	v_mul_f16_e32 v62, v100, v62
	v_fmac_f16_e32 v98, v88, v80
	v_fmac_f16_e32 v28, v94, v80
	v_lshrrev_b32_e32 v88, 16, v41
	v_mul_f16_e32 v80, v101, v60
	v_fma_f16 v62, v68, v81, -v62
	v_lshrrev_b32_e32 v68, 16, v42
	v_mul_f16_e32 v60, v61, v60
	v_fmac_f16_e32 v55, v100, v81
	v_fma_f16 v61, v61, v40, -v80
	v_mul_f16_e32 v80, v102, v88
	v_mul_f16_e32 v81, v63, v88
	v_lshrrev_b32_e32 v88, 16, v43
	v_fmac_f16_e32 v60, v101, v40
	v_mul_f16_e32 v40, v103, v68
	v_fma_f16 v63, v63, v41, -v80
	v_fmac_f16_e32 v81, v102, v41
	v_mul_f16_e32 v41, v65, v68
	v_lshrrev_b32_e32 v68, 16, v82
	v_fma_f16 v40, v65, v42, -v40
	v_mul_f16_e32 v65, v104, v88
	v_mul_f16_e32 v80, v67, v88
	v_lshrrev_b32_e32 v21, 16, v70
	v_fmac_f16_e32 v41, v103, v42
	v_mul_f16_e32 v42, v105, v68
	v_mul_f16_e32 v68, v69, v68
	v_fma_f16 v65, v67, v43, -v65
	v_fmac_f16_e32 v80, v104, v43
	v_lshrrev_b32_e32 v43, 16, v44
	v_lshrrev_b32_e32 v22, 16, v72
	v_fmac_f16_e32 v113, v25, v106
	v_lshrrev_b32_e32 v106, 16, v74
	v_fma_f16 v42, v69, v82, -v42
	v_fmac_f16_e32 v68, v105, v82
	v_lshrrev_b32_e32 v67, 16, v45
	v_lshrrev_b32_e32 v69, 16, v46
	v_mul_f16_e32 v82, v21, v43
	v_mul_f16_e32 v43, v70, v43
	v_lshrrev_b32_e32 v108, 16, v76
	v_fma_f16 v29, v64, v31, -v90
	v_lshrrev_b32_e32 v88, 16, v47
	v_mul_f16_e32 v90, v22, v67
	v_mul_f16_e32 v67, v72, v67
	v_fmac_f16_e32 v43, v21, v44
	v_mul_f16_e32 v21, v106, v69
	v_lshrrev_b32_e32 v86, 16, v78
	v_fma_f16 v70, v70, v44, -v82
	v_fma_f16 v44, v72, v45, -v90
	v_fmac_f16_e32 v67, v22, v45
	v_mul_f16_e32 v45, v74, v69
	v_lshrrev_b32_e32 v22, 16, v83
	v_fma_f16 v69, v74, v46, -v21
	v_mul_f16_e32 v21, v108, v88
	v_mul_f16_e32 v72, v76, v88
	v_fmac_f16_e32 v45, v106, v46
	v_mul_f16_e32 v46, v86, v22
	v_lshrrev_b32_e32 v25, 16, v71
	v_fma_f16 v76, v76, v47, -v21
	v_lshrrev_b32_e32 v21, 16, v48
	v_lshrrev_b32_e32 v97, 16, v73
	;; [unrolled: 1-line block ×3, first 2 shown]
	v_mul_f16_e32 v74, v78, v22
	v_fmac_f16_e32 v72, v108, v47
	v_fma_f16 v46, v78, v83, -v46
	v_lshrrev_b32_e32 v47, 16, v49
	v_lshrrev_b32_e32 v78, 16, v50
	v_mul_f16_e32 v22, v71, v21
	v_fmac_f16_e32 v74, v86, v83
	v_mul_f16_e32 v82, v25, v21
	v_lshrrev_b32_e32 v83, 16, v51
	v_mul_f16_e32 v86, v97, v47
	v_mul_f16_e32 v47, v73, v47
	v_fmac_f16_e32 v22, v25, v48
	v_mul_f16_e32 v25, v31, v78
	v_lshrrev_b32_e32 v64, 16, v77
	v_fma_f16 v21, v71, v48, -v82
	v_fma_f16 v48, v73, v49, -v86
	v_fmac_f16_e32 v47, v97, v49
	v_mul_f16_e32 v49, v75, v78
	v_fma_f16 v25, v75, v50, -v25
	v_mul_f16_e32 v73, v77, v83
	v_lshrrev_b32_e32 v75, 16, v84
	v_lshrrev_b32_e32 v66, 16, v79
	v_mul_f16_e32 v71, v64, v83
	v_fmac_f16_e32 v49, v31, v50
	v_fmac_f16_e32 v73, v64, v51
	v_mul_f16_e32 v64, v79, v75
	v_add_f16_e32 v78, v112, v32
	v_fma_f16 v31, v77, v51, -v71
	v_mul_f16_e32 v51, v66, v75
	v_add_f16_e32 v77, v85, v115
	v_fmac_f16_e32 v64, v66, v84
	v_add_f16_e32 v66, v115, v119
	v_add_f16_e32 v50, v58, v118
	v_fma_f16 v51, v79, v84, -v51
	v_add_f16_e32 v79, v56, v112
	v_fmac_f16_e32 v56, -0.5, v78
	v_fmac_f16_e32 v85, -0.5, v66
	v_add_f16_e32 v66, v116, v98
	v_sub_f16_e32 v78, v116, v98
	v_add_f16_e32 v82, v113, v116
	v_add_f16_e32 v71, v52, v58
	v_fma_f16 v50, -0.5, v50, v52
	v_fmac_f16_e32 v113, -0.5, v66
	v_sub_f16_e32 v66, v112, v32
	v_sub_f16_e32 v52, v115, v119
	;; [unrolled: 1-line block ×3, first 2 shown]
	v_fmamk_f16 v83, v78, 0x3aee, v56
	v_fmac_f16_e32 v56, 0xbaee, v78
	v_fmamk_f16 v84, v66, 0xbaee, v113
	v_fmac_f16_e32 v113, 0x3aee, v66
	;; [unrolled: 2-line block ×3, first 2 shown]
	v_add_f16_e32 v52, v77, v119
	v_fmamk_f16 v77, v58, 0xbaee, v85
	v_fmac_f16_e32 v85, 0x3aee, v58
	v_add_f16_e32 v32, v79, v32
	v_mul_f16_e32 v58, 0x3aee, v84
	v_add_f16_e32 v78, v82, v98
	v_mul_f16_e32 v79, 0xbaee, v83
	v_mul_f16_e32 v82, -0.5, v113
	v_add_f16_e32 v71, v71, v118
	v_fmac_f16_e32 v58, 0.5, v83
	v_mul_f16_e32 v66, -0.5, v56
	v_fmac_f16_e32 v79, 0.5, v84
	v_fmac_f16_e32 v82, 0xbaee, v56
	v_add_f16_e32 v83, v71, v32
	v_add_f16_e32 v56, v75, v58
	v_sub_f16_e32 v58, v75, v58
	v_add_f16_e32 v88, v77, v79
	v_add_f16_e32 v90, v85, v82
	v_sub_f16_e32 v75, v77, v79
	v_sub_f16_e32 v77, v85, v82
	v_add_f16_e32 v82, v109, v54
	v_add_f16_e32 v85, v110, v28
	v_fmac_f16_e32 v66, 0x3aee, v113
	v_add_f16_e32 v86, v52, v78
	v_sub_f16_e32 v32, v71, v32
	v_add_f16_e32 v71, v117, v114
	v_sub_f16_e32 v52, v52, v78
	v_add_f16_e32 v78, v59, v111
	v_add_f16_e32 v91, v57, v109
	v_fmac_f16_e32 v57, -0.5, v82
	v_sub_f16_e32 v82, v110, v28
	v_add_f16_e32 v94, v107, v110
	v_fmac_f16_e32 v107, -0.5, v85
	v_sub_f16_e32 v85, v109, v54
	v_add_f16_e32 v84, v50, v66
	v_sub_f16_e32 v50, v50, v66
	v_add_f16_e32 v66, v53, v117
	v_fmac_f16_e32 v53, -0.5, v71
	v_sub_f16_e32 v71, v59, v111
	v_add_f16_e32 v59, v89, v59
	v_fmac_f16_e32 v89, -0.5, v78
	v_sub_f16_e32 v78, v117, v114
	v_fmamk_f16 v97, v82, 0x3aee, v57
	v_fmamk_f16 v98, v85, 0xbaee, v107
	v_fmac_f16_e32 v57, 0xbaee, v82
	v_fmac_f16_e32 v107, 0x3aee, v85
	v_fmamk_f16 v79, v71, 0x3aee, v53
	v_fmac_f16_e32 v53, 0xbaee, v71
	v_add_f16_e32 v59, v59, v111
	v_fmamk_f16 v71, v78, 0xbaee, v89
	v_fmac_f16_e32 v89, 0x3aee, v78
	v_add_f16_e32 v54, v91, v54
	v_mul_f16_e32 v78, 0x3aee, v98
	v_mul_f16_e32 v82, -0.5, v57
	v_add_f16_e32 v28, v94, v28
	v_mul_f16_e32 v85, 0xbaee, v97
	v_mul_f16_e32 v91, -0.5, v107
	v_add_f16_e32 v66, v66, v114
	v_fmac_f16_e32 v78, 0.5, v97
	v_fmac_f16_e32 v82, 0x3aee, v107
	v_fmac_f16_e32 v85, 0.5, v98
	v_fmac_f16_e32 v91, 0xbaee, v57
	v_add_f16_e32 v98, v59, v28
	v_sub_f16_e32 v28, v59, v28
	v_add_f16_e32 v59, v9, v27
	v_add_f16_e32 v94, v66, v54
	v_add_f16_e32 v57, v79, v78
	v_add_f16_e32 v97, v53, v82
	v_add_f16_e32 v100, v89, v91
	v_sub_f16_e32 v54, v66, v54
	v_add_f16_e32 v66, v27, v30
	v_sub_f16_e32 v78, v79, v78
	v_sub_f16_e32 v53, v53, v82
	;; [unrolled: 1-line block ×3, first 2 shown]
	v_add_f16_e32 v82, v92, v96
	v_add_f16_e32 v59, v59, v30
	;; [unrolled: 1-line block ×3, first 2 shown]
	v_sub_f16_e32 v27, v27, v30
	v_add_f16_e32 v30, v93, v55
	v_fma_f16 v9, -0.5, v66, v9
	v_sub_f16_e32 v66, v92, v96
	v_add_f16_e32 v89, v95, v92
	v_fmac_f16_e32 v95, -0.5, v82
	v_add_f16_e32 v82, v26, v29
	v_fmac_f16_e32 v26, -0.5, v91
	v_sub_f16_e32 v91, v93, v55
	v_add_f16_e32 v92, v87, v93
	v_fmac_f16_e32 v87, -0.5, v30
	v_sub_f16_e32 v29, v29, v62
	v_add_f16_e32 v30, v89, v96
	v_fmamk_f16 v89, v91, 0x3aee, v26
	v_fmac_f16_e32 v26, 0xbaee, v91
	v_add_f16_e32 v99, v71, v85
	v_fmamk_f16 v93, v29, 0xbaee, v87
	v_fmac_f16_e32 v87, 0x3aee, v29
	v_sub_f16_e32 v71, v71, v85
	v_fmamk_f16 v85, v66, 0x3aee, v9
	v_fmac_f16_e32 v9, 0xbaee, v66
	v_fmamk_f16 v66, v27, 0xbaee, v95
	v_fmac_f16_e32 v95, 0x3aee, v27
	v_add_f16_e32 v27, v82, v62
	v_mul_f16_e32 v62, -0.5, v26
	v_add_f16_e32 v55, v92, v55
	v_mul_f16_e32 v82, 0xbaee, v89
	v_mul_f16_e32 v91, -0.5, v87
	v_mul_f16_e32 v29, 0x3aee, v93
	v_fmac_f16_e32 v62, 0x3aee, v87
	v_add_f16_e32 v92, v30, v55
	v_fmac_f16_e32 v82, 0.5, v93
	v_fmac_f16_e32 v91, 0xbaee, v26
	v_sub_f16_e32 v30, v30, v55
	v_add_f16_e32 v55, v10, v63
	v_fmac_f16_e32 v29, 0.5, v89
	v_add_f16_e32 v87, v59, v27
	v_add_f16_e32 v89, v9, v62
	;; [unrolled: 1-line block ×4, first 2 shown]
	v_sub_f16_e32 v27, v59, v27
	v_add_f16_e32 v59, v63, v65
	v_sub_f16_e32 v9, v9, v62
	v_sub_f16_e32 v62, v66, v82
	;; [unrolled: 1-line block ×3, first 2 shown]
	v_add_f16_e32 v82, v81, v80
	v_add_f16_e32 v55, v55, v65
	;; [unrolled: 1-line block ×3, first 2 shown]
	v_sub_f16_e32 v63, v63, v65
	v_add_f16_e32 v65, v41, v68
	v_fmac_f16_e32 v10, -0.5, v59
	v_sub_f16_e32 v59, v81, v80
	v_add_f16_e32 v81, v24, v81
	v_fmac_f16_e32 v24, -0.5, v82
	v_add_f16_e32 v82, v61, v40
	v_fmac_f16_e32 v61, -0.5, v91
	v_sub_f16_e32 v91, v41, v68
	v_add_f16_e32 v41, v60, v41
	v_fmac_f16_e32 v60, -0.5, v65
	v_sub_f16_e32 v40, v40, v42
	v_add_f16_e32 v26, v85, v29
	v_sub_f16_e32 v29, v85, v29
	v_fmamk_f16 v85, v59, 0x3aee, v10
	v_fmac_f16_e32 v10, 0xbaee, v59
	v_add_f16_e32 v59, v81, v80
	v_fmamk_f16 v80, v91, 0x3aee, v61
	v_fmamk_f16 v81, v40, 0xbaee, v60
	v_fmac_f16_e32 v61, 0xbaee, v91
	v_fmac_f16_e32 v60, 0x3aee, v40
	v_fmamk_f16 v65, v63, 0xbaee, v24
	v_fmac_f16_e32 v24, 0x3aee, v63
	v_add_f16_e32 v42, v82, v42
	v_mul_f16_e32 v63, -0.5, v61
	v_add_f16_e32 v41, v41, v68
	v_mul_f16_e32 v68, 0xbaee, v80
	v_mul_f16_e32 v82, -0.5, v60
	v_mul_f16_e32 v40, 0x3aee, v81
	v_fmac_f16_e32 v63, 0x3aee, v60
	v_lshrrev_b32_e32 v20, 16, v7
	v_fmac_f16_e32 v68, 0.5, v81
	v_fmac_f16_e32 v82, 0xbaee, v61
	v_fmac_f16_e32 v40, 0.5, v80
	v_add_f16_e32 v60, v55, v42
	v_add_f16_e32 v80, v10, v63
	;; [unrolled: 1-line block ×5, first 2 shown]
	v_sub_f16_e32 v42, v55, v42
	v_add_f16_e32 v55, v44, v76
	v_sub_f16_e32 v10, v10, v63
	v_sub_f16_e32 v41, v59, v41
	v_add_f16_e32 v59, v7, v44
	v_sub_f16_e32 v63, v65, v68
	v_sub_f16_e32 v24, v24, v82
	v_add_f16_e32 v65, v67, v72
	v_add_f16_e32 v82, v69, v46
	v_fma_f16 v7, -0.5, v55, v7
	v_sub_f16_e32 v55, v67, v72
	v_add_f16_e32 v59, v59, v76
	v_add_f16_e32 v67, v20, v67
	v_fmac_f16_e32 v20, -0.5, v65
	v_sub_f16_e32 v44, v44, v76
	v_add_f16_e32 v65, v45, v74
	v_add_f16_e32 v76, v70, v69
	v_fmac_f16_e32 v70, -0.5, v82
	v_sub_f16_e32 v82, v45, v74
	v_add_f16_e32 v45, v43, v45
	v_fmac_f16_e32 v43, -0.5, v65
	v_sub_f16_e32 v65, v69, v46
	v_fmamk_f16 v68, v55, 0x3aee, v7
	v_fmamk_f16 v69, v82, 0x3aee, v70
	v_fmac_f16_e32 v70, 0xbaee, v82
	v_fmac_f16_e32 v7, 0xbaee, v55
	v_add_f16_e32 v55, v67, v72
	v_fmamk_f16 v72, v65, 0xbaee, v43
	v_fmac_f16_e32 v43, 0x3aee, v65
	v_mul_f16_e32 v65, -0.5, v70
	v_add_f16_e32 v45, v45, v74
	v_mul_f16_e32 v74, 0xbaee, v69
	v_fmamk_f16 v67, v44, 0xbaee, v20
	v_fmac_f16_e32 v20, 0x3aee, v44
	v_add_f16_e32 v44, v76, v46
	v_mul_f16_e32 v76, -0.5, v43
	v_fmac_f16_e32 v65, 0x3aee, v43
	v_fmac_f16_e32 v74, 0.5, v72
	v_lshrrev_b32_e32 v19, 16, v8
	v_mul_f16_e32 v46, 0x3aee, v72
	v_add_f16_e32 v43, v59, v44
	v_fmac_f16_e32 v76, 0xbaee, v70
	v_add_f16_e32 v70, v7, v65
	v_add_f16_e32 v72, v55, v45
	;; [unrolled: 1-line block ×3, first 2 shown]
	v_sub_f16_e32 v44, v59, v44
	v_add_f16_e32 v59, v48, v31
	v_sub_f16_e32 v7, v7, v65
	v_sub_f16_e32 v45, v55, v45
	v_add_f16_e32 v55, v8, v48
	v_sub_f16_e32 v65, v67, v74
	v_add_f16_e32 v67, v47, v73
	v_add_f16_e32 v74, v25, v51
	v_fmac_f16_e32 v46, 0.5, v69
	v_fmac_f16_e32 v8, -0.5, v59
	v_sub_f16_e32 v59, v47, v73
	v_add_f16_e32 v55, v55, v31
	v_add_f16_e32 v47, v19, v47
	v_fmac_f16_e32 v19, -0.5, v67
	v_sub_f16_e32 v31, v48, v31
	v_add_f16_e32 v48, v49, v64
	v_add_f16_e32 v67, v21, v25
	v_fmac_f16_e32 v21, -0.5, v74
	v_sub_f16_e32 v74, v49, v64
	v_add_f16_e32 v69, v68, v46
	v_sub_f16_e32 v46, v68, v46
	v_fmamk_f16 v68, v59, 0x3aee, v8
	v_add_f16_e32 v49, v22, v49
	v_fmac_f16_e32 v22, -0.5, v48
	v_sub_f16_e32 v25, v25, v51
	v_fmac_f16_e32 v8, 0xbaee, v59
	v_fmamk_f16 v59, v74, 0x3aee, v21
	v_fmac_f16_e32 v21, 0xbaee, v74
	v_add_f16_e32 v47, v47, v73
	v_fmamk_f16 v48, v31, 0xbaee, v19
	v_fmamk_f16 v73, v25, 0xbaee, v22
	v_fmac_f16_e32 v19, 0x3aee, v31
	v_add_f16_e32 v31, v67, v51
	v_fmac_f16_e32 v22, 0x3aee, v25
	v_mul_f16_e32 v51, -0.5, v21
	v_mul_f16_e32 v25, 0x3aee, v73
	v_add_f16_e32 v49, v49, v64
	v_mul_f16_e32 v64, 0xbaee, v59
	v_mul_f16_e32 v67, -0.5, v22
	v_fmac_f16_e32 v51, 0x3aee, v22
	v_fmac_f16_e32 v25, 0.5, v59
	v_add_f16_e32 v22, v55, v31
	v_fmac_f16_e32 v64, 0.5, v73
	v_add_f16_e32 v73, v47, v49
	v_add_f16_e32 v59, v8, v51
	v_sub_f16_e32 v8, v8, v51
	v_sub_f16_e32 v47, v47, v49
	v_pack_b32_f16 v49, v83, v86
	v_pack_b32_f16 v51, v56, v88
	v_sub_f16_e32 v31, v55, v31
	v_pack_b32_f16 v55, v84, v90
	v_pack_b32_f16 v32, v32, v52
	;; [unrolled: 1-line block ×4, first 2 shown]
	ds_store_2addr_b32 v0, v49, v51 offset1:60
	ds_store_2addr_b32 v0, v55, v32 offset0:120 offset1:180
	ds_store_2addr_b32 v39, v52, v50 offset0:112 offset1:172
	v_pack_b32_f16 v32, v94, v98
	v_pack_b32_f16 v49, v57, v99
	v_add_f16_e32 v61, v85, v40
	v_pack_b32_f16 v50, v97, v100
	v_pack_b32_f16 v28, v54, v28
	;; [unrolled: 1-line block ×4, first 2 shown]
	v_sub_f16_e32 v40, v85, v40
	v_fmac_f16_e32 v67, 0xbaee, v21
	v_pack_b32_f16 v53, v87, v92
	v_pack_b32_f16 v26, v26, v93
	v_add_nc_u32_e32 v54, 0xa00, v17
	v_pack_b32_f16 v55, v89, v96
	v_pack_b32_f16 v27, v27, v30
	v_add_nc_u32_e32 v17, 0xc00, v17
	v_add_f16_e32 v85, v20, v76
	ds_store_2addr_b32 v35, v32, v49 offset0:104 offset1:164
	ds_store_2addr_b32 v12, v50, v28 offset0:96 offset1:156
	;; [unrolled: 1-line block ×5, first 2 shown]
	v_pack_b32_f16 v26, v29, v62
	v_pack_b32_f16 v9, v9, v66
	v_sub_f16_e32 v20, v20, v76
	v_pack_b32_f16 v27, v60, v81
	v_pack_b32_f16 v28, v61, v91
	v_add_nc_u32_e32 v29, 0x1000, v18
	v_add_f16_e32 v21, v68, v25
	v_add_f16_e32 v74, v48, v64
	v_pack_b32_f16 v30, v80, v95
	v_pack_b32_f16 v32, v42, v41
	v_add_f16_e32 v76, v19, v67
	v_pack_b32_f16 v40, v40, v63
	v_pack_b32_f16 v10, v10, v24
	v_add_nc_u32_e32 v18, 0x1400, v18
	v_sub_f16_e32 v25, v68, v25
	v_sub_f16_e32 v48, v48, v64
	;; [unrolled: 1-line block ×3, first 2 shown]
	v_pack_b32_f16 v24, v43, v72
	v_pack_b32_f16 v41, v69, v82
	v_add_nc_u32_e32 v42, 0x1400, v15
	ds_store_2addr_b32 v17, v26, v9 offset0:192 offset1:252
	ds_store_2addr_b32 v29, v27, v28 offset0:56 offset1:116
	;; [unrolled: 1-line block ×5, first 2 shown]
	v_pack_b32_f16 v9, v70, v85
	v_pack_b32_f16 v10, v44, v45
	v_add_nc_u32_e32 v15, 0x1800, v15
	v_pack_b32_f16 v17, v46, v65
	v_pack_b32_f16 v7, v7, v20
	;; [unrolled: 1-line block ×4, first 2 shown]
	v_add_nc_u32_e32 v21, 0x1c00, v16
	v_pack_b32_f16 v22, v59, v76
	v_pack_b32_f16 v24, v31, v47
	;; [unrolled: 1-line block ×4, first 2 shown]
	v_add_nc_u32_e32 v16, 0x1e00, v16
	ds_store_2addr_b32 v15, v9, v10 offset0:24 offset1:84
	ds_store_2addr_b32 v15, v17, v7 offset0:144 offset1:204
	;; [unrolled: 1-line block ×5, first 2 shown]
	global_wb scope:SCOPE_SE
	s_wait_dscnt 0x0
	s_barrier_signal -1
	s_barrier_wait -1
	global_inv scope:SCOPE_SE
	global_load_b128 v[19:22], v23, s[8:9] offset:1400
	v_mul_u32_u24_e32 v7, 5, v14
	s_delay_alu instid0(VALU_DEP_1)
	v_lshlrev_b32_e32 v7, 2, v7
	s_clause 0x6
	global_load_b128 v[24:27], v7, s[8:9] offset:1400
	global_load_b32 v23, v23, s[8:9] offset:1416
	global_load_b32 v32, v7, s[8:9] offset:1416
	global_load_b128 v[28:31], v7, s[8:9] offset:2600
	global_load_b32 v82, v7, s[8:9] offset:2616
	global_load_b128 v[40:43], v7, s[8:9] offset:3800
	global_load_b32 v83, v7, s[8:9] offset:3816
	v_add_nc_u32_e32 v8, 0xe10, v7
	s_clause 0x1
	global_load_b128 v[44:47], v8, s[8:9] offset:1400
	global_load_b32 v84, v8, s[8:9] offset:1416
	v_add_nc_u32_e32 v7, 0x12c0, v7
	s_clause 0x1
	global_load_b128 v[48:51], v7, s[8:9] offset:1400
	global_load_b32 v85, v7, s[8:9] offset:1416
	ds_load_2addr_b32 v[52:53], v0 offset1:60
	ds_load_2addr_b32 v[16:17], v38 offset0:56 offset1:116
	ds_load_2addr_b32 v[54:55], v33 offset0:160 offset1:220
	;; [unrolled: 1-line block ×17, first 2 shown]
	global_wb scope:SCOPE_SE
	s_wait_loadcnt_dscnt 0x0
	s_barrier_signal -1
	s_barrier_wait -1
	global_inv scope:SCOPE_SE
	v_lshrrev_b32_e32 v86, 16, v52
	v_lshrrev_b32_e32 v14, 16, v16
	;; [unrolled: 1-line block ×34, first 2 shown]
	s_delay_alu instid0(VALU_DEP_4) | instskip(SKIP_3) | instid1(VALU_DEP_4)
	v_mul_f16_e32 v115, v110, v111
	v_mul_f16_e32 v110, v110, v58
	;; [unrolled: 1-line block ×4, first 2 shown]
	v_fma_f16 v58, v19, v58, -v115
	s_delay_alu instid0(VALU_DEP_4)
	v_fmac_f16_e32 v110, v19, v111
	v_mul_f16_e32 v19, v14, v114
	v_fma_f16 v60, v20, v60, -v117
	v_fmac_f16_e32 v112, v20, v113
	v_mul_f16_e32 v20, v16, v114
	v_mul_f16_e32 v111, v87, v116
	v_fma_f16 v19, v16, v21, -v19
	v_lshrrev_b32_e32 v16, 16, v24
	v_mul_f16_e32 v113, v54, v116
	v_fmac_f16_e32 v20, v14, v21
	v_fma_f16 v21, v54, v22, -v111
	v_lshrrev_b32_e32 v54, 16, v25
	v_mul_f16_e32 v14, v90, v16
	v_lshrrev_b32_e32 v114, 16, v26
	v_fmac_f16_e32 v113, v87, v22
	v_lshrrev_b32_e32 v87, 16, v23
	v_mul_f16_e32 v111, v91, v54
	v_fma_f16 v115, v59, v24, -v14
	v_mul_f16_e32 v59, v59, v16
	v_mul_f16_e32 v16, v92, v114
	v_lshrrev_b32_e32 v116, 16, v27
	v_fma_f16 v111, v61, v25, -v111
	v_mul_f16_e32 v54, v61, v54
	v_mul_f16_e32 v61, v88, v87
	;; [unrolled: 1-line block ×3, first 2 shown]
	v_fma_f16 v117, v17, v26, -v16
	v_mul_f16_e32 v16, v93, v116
	v_mul_f16_e32 v114, v17, v114
	v_fmac_f16_e32 v54, v91, v25
	v_fmac_f16_e32 v87, v88, v23
	v_fma_f16 v23, v56, v23, -v61
	v_fma_f16 v61, v55, v27, -v16
	v_lshrrev_b32_e32 v16, 16, v32
	v_mul_f16_e32 v55, v55, v116
	v_fmac_f16_e32 v114, v92, v26
	v_fmac_f16_e32 v59, v90, v24
	v_lshrrev_b32_e32 v22, 16, v80
	v_mul_f16_e32 v17, v94, v16
	v_mul_f16_e32 v25, v57, v16
	v_lshrrev_b32_e32 v16, 16, v28
	v_fmac_f16_e32 v55, v93, v27
	v_lshrrev_b32_e32 v27, 16, v30
	v_fma_f16 v26, v57, v32, -v17
	v_lshrrev_b32_e32 v17, 16, v29
	v_fmac_f16_e32 v25, v94, v32
	v_mul_f16_e32 v32, v96, v16
	v_mul_f16_e32 v57, v62, v16
	v_lshrrev_b32_e32 v16, 16, v31
	v_mul_f16_e32 v90, v97, v17
	v_mul_f16_e32 v91, v64, v17
	v_fma_f16 v32, v62, v28, -v32
	v_fmac_f16_e32 v57, v96, v28
	v_mul_f16_e32 v17, v98, v27
	v_fma_f16 v28, v64, v29, -v90
	v_fmac_f16_e32 v91, v97, v29
	v_lshrrev_b32_e32 v29, 16, v82
	v_mul_f16_e32 v27, v66, v27
	v_fma_f16 v62, v66, v30, -v17
	v_mul_f16_e32 v17, v99, v16
	v_mul_f16_e32 v64, v68, v16
	;; [unrolled: 1-line block ×3, first 2 shown]
	v_fmac_f16_e32 v27, v98, v30
	v_mul_f16_e32 v29, v70, v29
	v_fma_f16 v30, v68, v31, -v17
	v_fmac_f16_e32 v64, v99, v31
	v_lshrrev_b32_e32 v17, 16, v40
	v_fma_f16 v31, v70, v82, -v16
	v_lshrrev_b32_e32 v16, 16, v41
	v_fmac_f16_e32 v29, v100, v82
	v_lshrrev_b32_e32 v66, 16, v42
	v_mul_f16_e32 v68, v101, v17
	v_mul_f16_e32 v70, v63, v17
	;; [unrolled: 1-line block ×3, first 2 shown]
	v_lshrrev_b32_e32 v17, 16, v43
	v_mul_f16_e32 v90, v65, v16
	v_fma_f16 v63, v63, v40, -v68
	v_fmac_f16_e32 v70, v101, v40
	v_mul_f16_e32 v16, v103, v66
	v_fma_f16 v40, v65, v41, -v82
	v_lshrrev_b32_e32 v65, 16, v83
	v_fmac_f16_e32 v90, v102, v41
	v_mul_f16_e32 v41, v67, v66
	v_fma_f16 v66, v67, v42, -v16
	v_mul_f16_e32 v16, v104, v17
	v_mul_f16_e32 v67, v69, v17
	;; [unrolled: 1-line block ×3, first 2 shown]
	v_fmac_f16_e32 v41, v103, v42
	v_mul_f16_e32 v42, v71, v65
	v_fma_f16 v65, v69, v43, -v16
	v_fmac_f16_e32 v67, v104, v43
	v_lshrrev_b32_e32 v16, 16, v44
	v_fma_f16 v43, v71, v83, -v17
	v_lshrrev_b32_e32 v17, 16, v45
	v_lshrrev_b32_e32 v68, 16, v46
	v_fmac_f16_e32 v42, v105, v83
	v_mul_f16_e32 v69, v106, v16
	v_mul_f16_e32 v71, v72, v16
	v_lshrrev_b32_e32 v16, 16, v47
	v_mul_f16_e32 v82, v107, v17
	v_mul_f16_e32 v83, v74, v17
	;; [unrolled: 1-line block ×3, first 2 shown]
	v_fma_f16 v69, v72, v44, -v69
	v_fmac_f16_e32 v71, v106, v44
	v_fma_f16 v44, v74, v45, -v82
	v_fmac_f16_e32 v83, v107, v45
	v_mul_f16_e32 v45, v76, v68
	v_lshrrev_b32_e32 v68, 16, v84
	v_fma_f16 v72, v76, v46, -v17
	v_mul_f16_e32 v17, v109, v16
	v_mul_f16_e32 v74, v78, v16
	v_fmac_f16_e32 v45, v108, v46
	v_mul_f16_e32 v16, v22, v68
	v_mul_f16_e32 v46, v80, v68
	v_fma_f16 v68, v78, v47, -v17
	v_lshrrev_b32_e32 v17, 16, v48
	v_lshrrev_b32_e32 v88, 16, v75
	;; [unrolled: 1-line block ×3, first 2 shown]
	v_fmac_f16_e32 v74, v109, v47
	v_fma_f16 v47, v80, v84, -v16
	v_fmac_f16_e32 v46, v22, v84
	v_lshrrev_b32_e32 v16, 16, v49
	v_lshrrev_b32_e32 v22, 16, v50
	v_mul_f16_e32 v76, v118, v17
	v_mul_f16_e32 v17, v73, v17
	v_lshrrev_b32_e32 v116, 16, v79
	v_lshrrev_b32_e32 v78, 16, v51
	v_mul_f16_e32 v80, v88, v16
	v_mul_f16_e32 v82, v75, v16
	v_fma_f16 v16, v73, v48, -v76
	v_fmac_f16_e32 v17, v118, v48
	v_mul_f16_e32 v48, v56, v22
	v_mul_f16_e32 v22, v77, v22
	v_lshrrev_b32_e32 v76, 16, v85
	v_lshrrev_b32_e32 v24, 16, v81
	v_fma_f16 v73, v75, v49, -v80
	v_fmac_f16_e32 v82, v88, v49
	v_mul_f16_e32 v49, v116, v78
	v_mul_f16_e32 v75, v79, v78
	v_fmac_f16_e32 v22, v56, v50
	v_mul_f16_e32 v56, v81, v76
	v_add_f16_e32 v78, v86, v112
	v_fma_f16 v49, v79, v51, -v49
	v_fmac_f16_e32 v75, v116, v51
	v_mul_f16_e32 v51, v24, v76
	v_fmac_f16_e32 v56, v24, v85
	v_add_f16_e32 v24, v112, v113
	v_add_f16_e32 v76, v52, v60
	;; [unrolled: 1-line block ×3, first 2 shown]
	v_fma_f16 v48, v77, v50, -v48
	v_add_f16_e32 v50, v60, v21
	v_fmac_f16_e32 v86, -0.5, v24
	v_add_f16_e32 v24, v20, v87
	v_add_f16_e32 v76, v76, v21
	v_sub_f16_e32 v21, v60, v21
	v_add_f16_e32 v60, v58, v19
	v_fmac_f16_e32 v58, -0.5, v79
	v_sub_f16_e32 v79, v20, v87
	v_add_f16_e32 v20, v110, v20
	v_fmac_f16_e32 v110, -0.5, v24
	v_sub_f16_e32 v19, v19, v23
	v_fma_f16 v50, -0.5, v50, v52
	v_sub_f16_e32 v52, v112, v113
	v_add_f16_e32 v24, v78, v113
	v_fmamk_f16 v78, v79, 0x3aee, v58
	v_fmamk_f16 v80, v19, 0xbaee, v110
	v_fmac_f16_e32 v58, 0xbaee, v79
	v_fmamk_f16 v77, v52, 0x3aee, v50
	v_fmac_f16_e32 v50, 0xbaee, v52
	;; [unrolled: 2-line block ×3, first 2 shown]
	v_add_f16_e32 v21, v60, v23
	v_fmac_f16_e32 v110, 0x3aee, v19
	v_mul_f16_e32 v19, 0x3aee, v80
	v_mul_f16_e32 v23, -0.5, v58
	v_add_f16_e32 v20, v20, v87
	v_mul_f16_e32 v60, 0xbaee, v78
	v_mul_f16_e32 v79, -0.5, v110
	v_fmac_f16_e32 v19, 0.5, v78
	v_add_f16_e32 v78, v76, v21
	v_sub_f16_e32 v21, v76, v21
	v_add_f16_e32 v76, v111, v61
	v_fma_f16 v51, v81, v85, -v51
	v_fmac_f16_e32 v23, 0x3aee, v110
	v_fmac_f16_e32 v60, 0.5, v80
	v_fmac_f16_e32 v79, 0xbaee, v58
	v_add_f16_e32 v81, v24, v20
	v_sub_f16_e32 v20, v24, v20
	v_add_f16_e32 v24, v53, v111
	v_fmac_f16_e32 v53, -0.5, v76
	v_add_f16_e32 v76, v54, v55
	v_add_f16_e32 v80, v50, v23
	v_add_f16_e32 v84, v52, v60
	v_add_f16_e32 v85, v86, v79
	v_sub_f16_e32 v23, v50, v23
	v_sub_f16_e32 v50, v54, v55
	;; [unrolled: 1-line block ×4, first 2 shown]
	v_add_f16_e32 v54, v89, v54
	v_add_f16_e32 v79, v117, v26
	v_fmac_f16_e32 v89, -0.5, v76
	v_add_f16_e32 v76, v114, v25
	v_add_f16_e32 v86, v115, v117
	;; [unrolled: 1-line block ×3, first 2 shown]
	v_fmac_f16_e32 v115, -0.5, v79
	v_sub_f16_e32 v79, v114, v25
	v_fmac_f16_e32 v59, -0.5, v76
	v_sub_f16_e32 v76, v117, v26
	v_add_f16_e32 v58, v77, v19
	v_sub_f16_e32 v19, v77, v19
	v_add_f16_e32 v24, v24, v61
	v_fmamk_f16 v77, v50, 0x3aee, v53
	v_sub_f16_e32 v61, v111, v61
	v_fmac_f16_e32 v53, 0xbaee, v50
	v_add_f16_e32 v50, v54, v55
	v_fmamk_f16 v55, v79, 0x3aee, v115
	v_fmamk_f16 v88, v76, 0xbaee, v59
	v_fmac_f16_e32 v115, 0xbaee, v79
	v_fmac_f16_e32 v59, 0x3aee, v76
	v_fmamk_f16 v54, v61, 0xbaee, v89
	v_fmac_f16_e32 v89, 0x3aee, v61
	v_add_f16_e32 v26, v86, v26
	v_mul_f16_e32 v61, 0x3aee, v88
	v_mul_f16_e32 v76, -0.5, v115
	v_add_f16_e32 v25, v87, v25
	v_mul_f16_e32 v79, 0xbaee, v55
	v_mul_f16_e32 v86, -0.5, v59
	v_fmac_f16_e32 v61, 0.5, v55
	v_fmac_f16_e32 v76, 0x3aee, v59
	v_add_f16_e32 v55, v24, v26
	v_fmac_f16_e32 v79, 0.5, v88
	v_fmac_f16_e32 v86, 0xbaee, v115
	v_add_f16_e32 v88, v50, v25
	v_sub_f16_e32 v25, v50, v25
	v_add_f16_e32 v50, v9, v28
	v_add_f16_e32 v59, v77, v61
	;; [unrolled: 1-line block ×4, first 2 shown]
	v_sub_f16_e32 v24, v24, v26
	v_add_f16_e32 v26, v28, v30
	v_sub_f16_e32 v61, v77, v61
	v_sub_f16_e32 v53, v53, v76
	;; [unrolled: 1-line block ×3, first 2 shown]
	v_add_f16_e32 v77, v91, v64
	v_add_f16_e32 v50, v50, v30
	;; [unrolled: 1-line block ×3, first 2 shown]
	v_sub_f16_e32 v28, v28, v30
	v_add_f16_e32 v30, v27, v29
	v_fma_f16 v9, -0.5, v26, v9
	v_sub_f16_e32 v26, v91, v64
	v_add_f16_e32 v86, v95, v91
	v_fmac_f16_e32 v95, -0.5, v77
	v_add_f16_e32 v77, v32, v62
	v_fmac_f16_e32 v32, -0.5, v89
	v_sub_f16_e32 v89, v27, v29
	v_add_f16_e32 v27, v57, v27
	v_fmac_f16_e32 v57, -0.5, v30
	v_sub_f16_e32 v30, v62, v31
	v_add_f16_e32 v92, v54, v79
	v_sub_f16_e32 v54, v54, v79
	v_fmamk_f16 v79, v26, 0x3aee, v9
	v_fmac_f16_e32 v9, 0xbaee, v26
	v_add_f16_e32 v26, v86, v64
	v_fmamk_f16 v64, v89, 0x3aee, v32
	v_fmamk_f16 v86, v30, 0xbaee, v57
	v_fmac_f16_e32 v32, 0xbaee, v89
	v_fmamk_f16 v62, v28, 0xbaee, v95
	v_fmac_f16_e32 v95, 0x3aee, v28
	v_add_f16_e32 v28, v77, v31
	v_fmac_f16_e32 v57, 0x3aee, v30
	v_mul_f16_e32 v30, 0x3aee, v86
	v_mul_f16_e32 v31, -0.5, v32
	v_add_f16_e32 v27, v27, v29
	v_mul_f16_e32 v29, 0xbaee, v64
	v_mul_f16_e32 v77, -0.5, v57
	v_fmac_f16_e32 v30, 0.5, v64
	v_fmac_f16_e32 v31, 0x3aee, v57
	v_add_f16_e32 v57, v50, v28
	v_fmac_f16_e32 v29, 0.5, v86
	v_fmac_f16_e32 v77, 0xbaee, v32
	v_add_f16_e32 v32, v79, v30
	v_add_f16_e32 v64, v9, v31
	;; [unrolled: 1-line block ×4, first 2 shown]
	v_sub_f16_e32 v28, v50, v28
	v_add_f16_e32 v50, v40, v65
	v_sub_f16_e32 v30, v79, v30
	v_sub_f16_e32 v9, v9, v31
	;; [unrolled: 1-line block ×3, first 2 shown]
	v_add_f16_e32 v27, v10, v40
	v_sub_f16_e32 v31, v90, v67
	v_sub_f16_e32 v29, v62, v29
	v_add_f16_e32 v62, v90, v67
	v_add_f16_e32 v79, v18, v90
	;; [unrolled: 1-line block ×3, first 2 shown]
	v_fmac_f16_e32 v10, -0.5, v50
	v_add_f16_e32 v27, v27, v65
	v_fmac_f16_e32 v18, -0.5, v62
	v_sub_f16_e32 v40, v40, v65
	v_add_f16_e32 v62, v41, v42
	v_add_f16_e32 v65, v63, v66
	v_fmac_f16_e32 v63, -0.5, v90
	v_sub_f16_e32 v90, v41, v42
	v_add_f16_e32 v91, v95, v77
	v_sub_f16_e32 v50, v95, v77
	v_fmamk_f16 v77, v31, 0x3aee, v10
	v_add_f16_e32 v41, v70, v41
	v_fmac_f16_e32 v70, -0.5, v62
	v_sub_f16_e32 v62, v66, v43
	v_fmac_f16_e32 v10, 0xbaee, v31
	v_add_f16_e32 v31, v79, v67
	v_fmamk_f16 v67, v90, 0x3aee, v63
	v_fmac_f16_e32 v63, 0xbaee, v90
	v_fmamk_f16 v79, v62, 0xbaee, v70
	v_fmac_f16_e32 v70, 0x3aee, v62
	;; [unrolled: 2-line block ×3, first 2 shown]
	v_mul_f16_e32 v62, -0.5, v63
	v_add_f16_e32 v40, v65, v43
	v_mul_f16_e32 v43, 0x3aee, v79
	v_add_f16_e32 v41, v41, v42
	v_mul_f16_e32 v42, 0xbaee, v67
	v_fmac_f16_e32 v62, 0x3aee, v70
	v_mul_f16_e32 v65, -0.5, v70
	v_fmac_f16_e32 v43, 0.5, v67
	v_add_f16_e32 v67, v27, v40
	v_fmac_f16_e32 v42, 0.5, v79
	v_add_f16_e32 v70, v10, v62
	v_sub_f16_e32 v10, v10, v62
	v_add_f16_e32 v62, v83, v74
	v_fmac_f16_e32 v65, 0xbaee, v63
	v_add_f16_e32 v63, v77, v43
	v_add_f16_e32 v79, v31, v41
	;; [unrolled: 1-line block ×3, first 2 shown]
	v_sub_f16_e32 v27, v27, v40
	v_add_f16_e32 v40, v44, v68
	v_sub_f16_e32 v43, v77, v43
	v_sub_f16_e32 v31, v31, v41
	v_add_f16_e32 v41, v7, v44
	v_sub_f16_e32 v42, v66, v42
	v_add_f16_e32 v66, v15, v83
	v_add_f16_e32 v77, v72, v47
	v_fmac_f16_e32 v15, -0.5, v62
	v_add_f16_e32 v62, v45, v46
	v_fma_f16 v7, -0.5, v40, v7
	v_sub_f16_e32 v40, v83, v74
	v_add_f16_e32 v41, v41, v68
	v_sub_f16_e32 v44, v44, v68
	v_add_f16_e32 v68, v69, v72
	v_fmac_f16_e32 v69, -0.5, v77
	v_sub_f16_e32 v77, v45, v46
	v_add_f16_e32 v45, v71, v45
	v_fmac_f16_e32 v71, -0.5, v62
	v_sub_f16_e32 v62, v72, v47
	v_add_f16_e32 v94, v18, v65
	v_sub_f16_e32 v18, v18, v65
	v_fmamk_f16 v65, v40, 0x3aee, v7
	v_fmac_f16_e32 v7, 0xbaee, v40
	v_add_f16_e32 v40, v66, v74
	v_fmamk_f16 v72, v77, 0x3aee, v69
	v_fmamk_f16 v74, v62, 0xbaee, v71
	v_fmac_f16_e32 v69, 0xbaee, v77
	v_fmac_f16_e32 v71, 0x3aee, v62
	v_fmamk_f16 v66, v44, 0xbaee, v15
	v_fmac_f16_e32 v15, 0x3aee, v44
	v_add_f16_e32 v44, v68, v47
	v_mul_f16_e32 v62, -0.5, v69
	v_mul_f16_e32 v68, -0.5, v71
	v_mul_f16_e32 v47, 0x3aee, v74
	v_add_f16_e32 v45, v45, v46
	v_mul_f16_e32 v46, 0xbaee, v72
	v_fmac_f16_e32 v62, 0x3aee, v71
	v_fmac_f16_e32 v68, 0xbaee, v69
	v_lshrrev_b32_e32 v14, 16, v8
	v_fmac_f16_e32 v47, 0.5, v72
	v_add_f16_e32 v71, v41, v44
	v_fmac_f16_e32 v46, 0.5, v74
	v_add_f16_e32 v72, v7, v62
	v_add_f16_e32 v74, v40, v45
	v_add_f16_e32 v83, v15, v68
	v_sub_f16_e32 v41, v41, v44
	v_add_f16_e32 v44, v73, v49
	v_sub_f16_e32 v7, v7, v62
	v_sub_f16_e32 v40, v40, v45
	v_add_f16_e32 v45, v8, v73
	v_sub_f16_e32 v15, v15, v68
	v_add_f16_e32 v62, v82, v75
	v_add_f16_e32 v68, v48, v51
	;; [unrolled: 1-line block ×3, first 2 shown]
	v_fmac_f16_e32 v8, -0.5, v44
	v_sub_f16_e32 v44, v82, v75
	v_sub_f16_e32 v46, v66, v46
	v_add_f16_e32 v45, v45, v49
	v_add_f16_e32 v66, v14, v82
	v_fmac_f16_e32 v14, -0.5, v62
	v_sub_f16_e32 v49, v73, v49
	v_add_f16_e32 v62, v22, v56
	v_add_f16_e32 v73, v16, v48
	v_fmac_f16_e32 v16, -0.5, v68
	v_sub_f16_e32 v68, v22, v56
	v_add_f16_e32 v69, v65, v47
	v_sub_f16_e32 v47, v65, v47
	v_fmamk_f16 v65, v44, 0x3aee, v8
	v_add_f16_e32 v22, v17, v22
	v_fmac_f16_e32 v17, -0.5, v62
	v_sub_f16_e32 v48, v48, v51
	v_fmac_f16_e32 v8, 0xbaee, v44
	v_add_f16_e32 v44, v66, v75
	v_fmamk_f16 v66, v68, 0x3aee, v16
	v_fmac_f16_e32 v16, 0xbaee, v68
	v_fmamk_f16 v62, v49, 0xbaee, v14
	v_fmamk_f16 v75, v48, 0xbaee, v17
	v_fmac_f16_e32 v14, 0x3aee, v49
	v_add_f16_e32 v49, v73, v51
	v_fmac_f16_e32 v17, 0x3aee, v48
	v_mul_f16_e32 v51, -0.5, v16
	v_add_f16_e32 v22, v22, v56
	v_mul_f16_e32 v56, 0xbaee, v66
	v_mul_f16_e32 v48, 0x3aee, v75
	v_mul_f16_e32 v68, -0.5, v17
	v_fmac_f16_e32 v51, 0x3aee, v17
	v_add_f16_e32 v17, v45, v49
	v_fmac_f16_e32 v56, 0.5, v75
	v_sub_f16_e32 v45, v45, v49
	v_pack_b32_f16 v49, v78, v81
	v_pack_b32_f16 v55, v55, v88
	v_fmac_f16_e32 v48, 0.5, v66
	v_add_f16_e32 v66, v8, v51
	v_sub_f16_e32 v8, v8, v51
	v_pack_b32_f16 v51, v58, v84
	v_pack_b32_f16 v20, v21, v20
	;; [unrolled: 1-line block ×4, first 2 shown]
	v_add_f16_e32 v73, v44, v22
	v_add_f16_e32 v75, v62, v56
	v_sub_f16_e32 v22, v44, v22
	v_sub_f16_e32 v44, v62, v56
	v_pack_b32_f16 v56, v80, v85
	ds_store_2addr_b32 v0, v49, v55 offset1:60
	v_pack_b32_f16 v49, v87, v93
	v_pack_b32_f16 v24, v24, v25
	;; [unrolled: 1-line block ×5, first 2 shown]
	ds_store_2addr_b32 v35, v51, v23 offset0:104 offset1:164
	ds_store_2addr_b32 v13, v56, v49 offset0:80 offset1:140
	;; [unrolled: 1-line block ×5, first 2 shown]
	v_pack_b32_f16 v13, v57, v86
	v_pack_b32_f16 v20, v67, v79
	;; [unrolled: 1-line block ×3, first 2 shown]
	v_fmac_f16_e32 v68, 0xbaee, v16
	v_pack_b32_f16 v21, v64, v91
	v_pack_b32_f16 v23, v28, v26
	ds_store_2addr_b32 v0, v13, v20 offset0:120 offset1:180
	v_pack_b32_f16 v0, v63, v90
	v_pack_b32_f16 v13, v70, v94
	;; [unrolled: 1-line block ×7, first 2 shown]
	v_add_f16_e32 v16, v65, v48
	ds_store_2addr_b32 v12, v19, v0 offset0:96 offset1:156
	ds_store_2addr_b32 v2, v21, v13 offset0:72 offset1:132
	;; [unrolled: 1-line block ×5, first 2 shown]
	v_pack_b32_f16 v0, v71, v74
	v_pack_b32_f16 v10, v17, v73
	v_add_f16_e32 v82, v14, v68
	v_sub_f16_e32 v48, v65, v48
	v_sub_f16_e32 v14, v14, v68
	v_pack_b32_f16 v9, v69, v77
	ds_store_2addr_b32 v39, v0, v10 offset0:112 offset1:172
	v_pack_b32_f16 v0, v16, v75
	v_pack_b32_f16 v12, v72, v83
	;; [unrolled: 1-line block ×9, first 2 shown]
	ds_store_2addr_b32 v36, v9, v0 offset0:88 offset1:148
	ds_store_2addr_b32 v2, v12, v10 offset0:192 offset1:252
	;; [unrolled: 1-line block ×5, first 2 shown]
	global_wb scope:SCOPE_SE
	s_wait_dscnt 0x0
	s_barrier_signal -1
	s_barrier_wait -1
	global_inv scope:SCOPE_SE
	s_and_saveexec_b32 s0, vcc_lo
	s_cbranch_execz .LBB0_23
; %bb.22:
	v_mul_lo_u32 v0, s3, v5
	v_mul_lo_u32 v7, s2, v6
	v_mad_co_u64_u32 v[5:6], null, s2, v5, 0
	v_mov_b32_e32 v2, 0
	v_lshlrev_b64_e32 v[3:4], 2, v[3:4]
	v_lshl_add_u32 v35, v1, 2, 0
	v_add_nc_u32_e32 v33, 0x7f8, v1
	v_add_nc_u32_e32 v21, 0x168, v1
	;; [unrolled: 1-line block ×3, first 2 shown]
	v_add3_u32 v6, v6, v7, v0
	v_add_nc_u32_e32 v7, 60, v1
	v_dual_mov_b32 v8, v2 :: v_dual_add_nc_u32 v9, 0x78, v1
	v_lshlrev_b64_e32 v[15:16], 2, v[1:2]
	s_delay_alu instid0(VALU_DEP_4)
	v_lshlrev_b64_e32 v[5:6], 2, v[5:6]
	v_dual_mov_b32 v10, v2 :: v_dual_add_nc_u32 v11, 0xb4, v1
	ds_load_2addr_b32 v[13:14], v35 offset1:60
	v_mov_b32_e32 v20, v2
	v_mov_b32_e32 v22, v2
	v_add_co_u32 v0, vcc_lo, s6, v5
	s_wait_alu 0xfffd
	v_add_co_ci_u32_e32 v12, vcc_lo, s7, v6, vcc_lo
	v_lshlrev_b64_e32 v[5:6], 2, v[7:8]
	s_delay_alu instid0(VALU_DEP_3) | instskip(SKIP_1) | instid1(VALU_DEP_3)
	v_add_co_u32 v37, vcc_lo, v0, v3
	s_wait_alu 0xfffd
	v_add_co_ci_u32_e32 v38, vcc_lo, v12, v4, vcc_lo
	v_mov_b32_e32 v12, v2
	s_delay_alu instid0(VALU_DEP_3)
	v_add_co_u32 v7, vcc_lo, v37, v15
	v_add_nc_u32_e32 v15, 0xf0, v1
	v_add_nc_u32_e32 v0, 0x200, v35
	v_lshlrev_b64_e32 v[3:4], 2, v[9:10]
	s_wait_alu 0xfffd
	v_add_co_ci_u32_e32 v8, vcc_lo, v38, v16, vcc_lo
	v_dual_mov_b32 v16, v2 :: v_dual_add_nc_u32 v19, 0x12c, v1
	v_add_co_u32 v5, vcc_lo, v37, v5
	v_lshlrev_b64_e32 v[11:12], 2, v[11:12]
	ds_load_2addr_b32 v[17:18], v0 offset0:112 offset1:172
	v_add_nc_u32_e32 v0, 0x400, v35
	s_wait_alu 0xfffd
	v_add_co_ci_u32_e32 v6, vcc_lo, v38, v6, vcc_lo
	ds_load_2addr_b32 v[9:10], v35 offset0:120 offset1:180
	v_add_co_u32 v3, vcc_lo, v37, v3
	v_lshlrev_b64_e32 v[15:16], 2, v[15:16]
	s_wait_alu 0xfffd
	v_add_co_ci_u32_e32 v4, vcc_lo, v38, v4, vcc_lo
	v_add_co_u32 v11, vcc_lo, v37, v11
	v_lshlrev_b64_e32 v[19:20], 2, v[19:20]
	ds_load_2addr_b32 v[23:24], v0 offset0:104 offset1:164
	v_dual_mov_b32 v26, v2 :: v_dual_add_nc_u32 v27, 0x1e0, v1
	s_wait_alu 0xfffd
	v_add_co_ci_u32_e32 v12, vcc_lo, v38, v12, vcc_lo
	v_add_co_u32 v15, vcc_lo, v37, v15
	v_lshlrev_b64_e32 v[21:22], 2, v[21:22]
	s_wait_alu 0xfffd
	v_add_co_ci_u32_e32 v16, vcc_lo, v38, v16, vcc_lo
	v_add_co_u32 v19, vcc_lo, v37, v19
	v_lshlrev_b64_e32 v[25:26], 2, v[25:26]
	s_wait_alu 0xfffd
	v_add_co_ci_u32_e32 v20, vcc_lo, v38, v20, vcc_lo
	v_add_co_u32 v21, vcc_lo, v37, v21
	s_wait_alu 0xfffd
	v_add_co_ci_u32_e32 v22, vcc_lo, v38, v22, vcc_lo
	v_mov_b32_e32 v28, v2
	v_add_nc_u32_e32 v0, 0x600, v35
	v_add_co_u32 v25, vcc_lo, v37, v25
	s_wait_alu 0xfffd
	v_add_co_ci_u32_e32 v26, vcc_lo, v38, v26, vcc_lo
	s_wait_dscnt 0x3
	s_clause 0x1
	global_store_b32 v[7:8], v13, off
	global_store_b32 v[5:6], v14, off
	s_wait_dscnt 0x1
	s_clause 0x3
	global_store_b32 v[3:4], v9, off
	global_store_b32 v[11:12], v10, off
	;; [unrolled: 1-line block ×4, first 2 shown]
	s_wait_dscnt 0x0
	s_clause 0x1
	global_store_b32 v[21:22], v23, off
	global_store_b32 v[25:26], v24, off
	v_dual_mov_b32 v8, v2 :: v_dual_add_nc_u32 v7, 0x21c, v1
	v_add_nc_u32_e32 v9, 0x258, v1
	ds_load_2addr_b32 v[3:4], v0 offset0:96 offset1:156
	v_lshlrev_b64_e32 v[5:6], 2, v[27:28]
	v_add_nc_u32_e32 v0, 0x800, v35
	v_dual_mov_b32 v10, v2 :: v_dual_add_nc_u32 v11, 0x294, v1
	v_lshlrev_b64_e32 v[7:8], 2, v[7:8]
	v_dual_mov_b32 v12, v2 :: v_dual_add_nc_u32 v15, 0x2d0, v1
	ds_load_2addr_b32 v[13:14], v0 offset0:88 offset1:148
	v_add_nc_u32_e32 v0, 0xa00, v35
	v_add_co_u32 v5, vcc_lo, v37, v5
	v_lshlrev_b64_e32 v[9:10], 2, v[9:10]
	v_dual_mov_b32 v16, v2 :: v_dual_add_nc_u32 v19, 0x30c, v1
	s_wait_alu 0xfffd
	v_add_co_ci_u32_e32 v6, vcc_lo, v38, v6, vcc_lo
	v_add_co_u32 v7, vcc_lo, v37, v7
	v_lshlrev_b64_e32 v[11:12], 2, v[11:12]
	ds_load_2addr_b32 v[17:18], v0 offset0:80 offset1:140
	v_dual_mov_b32 v20, v2 :: v_dual_add_nc_u32 v21, 0x348, v1
	v_add_nc_u32_e32 v0, 0xc00, v35
	s_wait_alu 0xfffd
	v_add_co_ci_u32_e32 v8, vcc_lo, v38, v8, vcc_lo
	v_add_co_u32 v9, vcc_lo, v37, v9
	v_lshlrev_b64_e32 v[15:16], 2, v[15:16]
	v_dual_mov_b32 v22, v2 :: v_dual_add_nc_u32 v25, 0x384, v1
	s_wait_alu 0xfffd
	v_add_co_ci_u32_e32 v10, vcc_lo, v38, v10, vcc_lo
	v_add_co_u32 v11, vcc_lo, v37, v11
	v_lshlrev_b64_e32 v[19:20], 2, v[19:20]
	ds_load_2addr_b32 v[23:24], v0 offset0:72 offset1:132
	v_dual_mov_b32 v26, v2 :: v_dual_add_nc_u32 v27, 0x3c0, v1
	s_wait_alu 0xfffd
	v_add_co_ci_u32_e32 v12, vcc_lo, v38, v12, vcc_lo
	v_add_co_u32 v15, vcc_lo, v37, v15
	v_lshlrev_b64_e32 v[21:22], 2, v[21:22]
	s_wait_alu 0xfffd
	v_add_co_ci_u32_e32 v16, vcc_lo, v38, v16, vcc_lo
	v_add_co_u32 v19, vcc_lo, v37, v19
	v_lshlrev_b64_e32 v[25:26], 2, v[25:26]
	s_wait_alu 0xfffd
	v_add_co_ci_u32_e32 v20, vcc_lo, v38, v20, vcc_lo
	v_add_co_u32 v21, vcc_lo, v37, v21
	s_wait_alu 0xfffd
	v_add_co_ci_u32_e32 v22, vcc_lo, v38, v22, vcc_lo
	v_add_co_u32 v25, vcc_lo, v37, v25
	s_wait_alu 0xfffd
	v_add_co_ci_u32_e32 v26, vcc_lo, v38, v26, vcc_lo
	s_wait_dscnt 0x3
	s_clause 0x1
	global_store_b32 v[5:6], v3, off
	global_store_b32 v[7:8], v4, off
	s_wait_dscnt 0x2
	s_clause 0x1
	global_store_b32 v[9:10], v13, off
	global_store_b32 v[11:12], v14, off
	;; [unrolled: 4-line block ×4, first 2 shown]
	v_dual_mov_b32 v8, v2 :: v_dual_add_nc_u32 v7, 0x3fc, v1
	v_lshlrev_b64_e32 v[5:6], 2, v[27:28]
	v_dual_mov_b32 v10, v2 :: v_dual_add_nc_u32 v9, 0x438, v1
	v_dual_mov_b32 v12, v2 :: v_dual_add_nc_u32 v11, 0x474, v1
	s_delay_alu instid0(VALU_DEP_4)
	v_lshlrev_b64_e32 v[7:8], 2, v[7:8]
	ds_load_2addr_b32 v[3:4], v0 offset0:192 offset1:252
	v_add_nc_u32_e32 v0, 0x1000, v35
	v_add_co_u32 v5, vcc_lo, v37, v5
	v_lshlrev_b64_e32 v[9:10], 2, v[9:10]
	v_dual_mov_b32 v16, v2 :: v_dual_add_nc_u32 v15, 0x4b0, v1
	s_wait_alu 0xfffd
	v_add_co_ci_u32_e32 v6, vcc_lo, v38, v6, vcc_lo
	v_add_co_u32 v7, vcc_lo, v37, v7
	v_lshlrev_b64_e32 v[11:12], 2, v[11:12]
	ds_load_2addr_b32 v[13:14], v0 offset0:56 offset1:116
	ds_load_2addr_b32 v[17:18], v0 offset0:176 offset1:236
	v_dual_mov_b32 v20, v2 :: v_dual_add_nc_u32 v19, 0x4ec, v1
	v_add_nc_u32_e32 v0, 0x1400, v35
	s_wait_alu 0xfffd
	v_add_co_ci_u32_e32 v8, vcc_lo, v38, v8, vcc_lo
	v_add_co_u32 v9, vcc_lo, v37, v9
	v_lshlrev_b64_e32 v[15:16], 2, v[15:16]
	v_dual_mov_b32 v22, v2 :: v_dual_add_nc_u32 v21, 0x528, v1
	s_wait_alu 0xfffd
	v_add_co_ci_u32_e32 v10, vcc_lo, v38, v10, vcc_lo
	v_add_co_u32 v11, vcc_lo, v37, v11
	v_lshlrev_b64_e32 v[19:20], 2, v[19:20]
	ds_load_2addr_b32 v[25:26], v0 offset0:40 offset1:100
	v_dual_mov_b32 v24, v2 :: v_dual_add_nc_u32 v23, 0x564, v1
	s_wait_alu 0xfffd
	v_add_co_ci_u32_e32 v12, vcc_lo, v38, v12, vcc_lo
	v_add_co_u32 v15, vcc_lo, v37, v15
	v_lshlrev_b64_e32 v[21:22], 2, v[21:22]
	s_wait_alu 0xfffd
	v_add_co_ci_u32_e32 v16, vcc_lo, v38, v16, vcc_lo
	v_add_co_u32 v19, vcc_lo, v37, v19
	v_lshlrev_b64_e32 v[23:24], 2, v[23:24]
	s_wait_alu 0xfffd
	v_add_co_ci_u32_e32 v20, vcc_lo, v38, v20, vcc_lo
	v_add_co_u32 v21, vcc_lo, v37, v21
	v_dual_mov_b32 v30, v2 :: v_dual_add_nc_u32 v27, 0x5a0, v1
	s_wait_alu 0xfffd
	v_add_co_ci_u32_e32 v22, vcc_lo, v38, v22, vcc_lo
	v_add_co_u32 v23, vcc_lo, v37, v23
	v_add_nc_u32_e32 v29, 0x5dc, v1
	s_wait_alu 0xfffd
	v_add_co_ci_u32_e32 v24, vcc_lo, v38, v24, vcc_lo
	s_wait_dscnt 0x3
	s_clause 0x1
	global_store_b32 v[5:6], v3, off
	global_store_b32 v[7:8], v4, off
	s_wait_dscnt 0x2
	s_clause 0x1
	global_store_b32 v[9:10], v13, off
	global_store_b32 v[11:12], v14, off
	;; [unrolled: 4-line block ×4, first 2 shown]
	v_mov_b32_e32 v10, v2
	v_lshlrev_b64_e32 v[3:4], 2, v[27:28]
	v_dual_mov_b32 v14, v2 :: v_dual_add_nc_u32 v9, 0x618, v1
	v_lshlrev_b64_e32 v[7:8], 2, v[29:30]
	v_dual_mov_b32 v16, v2 :: v_dual_add_nc_u32 v13, 0x654, v1
	s_delay_alu instid0(VALU_DEP_4) | instskip(NEXT) | instid1(VALU_DEP_4)
	v_add_co_u32 v3, vcc_lo, v37, v3
	v_lshlrev_b64_e32 v[9:10], 2, v[9:10]
	v_dual_mov_b32 v18, v2 :: v_dual_add_nc_u32 v15, 0x690, v1
	s_wait_alu 0xfffd
	v_add_co_ci_u32_e32 v4, vcc_lo, v38, v4, vcc_lo
	v_add_co_u32 v7, vcc_lo, v37, v7
	v_lshlrev_b64_e32 v[13:14], 2, v[13:14]
	v_dual_mov_b32 v22, v2 :: v_dual_add_nc_u32 v17, 0x6cc, v1
	s_wait_alu 0xfffd
	v_add_co_ci_u32_e32 v8, vcc_lo, v38, v8, vcc_lo
	;; [unrolled: 5-line block ×3, first 2 shown]
	v_add_co_u32 v13, vcc_lo, v37, v13
	v_lshlrev_b64_e32 v[17:18], 2, v[17:18]
	ds_load_2addr_b32 v[5:6], v0 offset0:160 offset1:220
	v_add_nc_u32_e32 v0, 0x1800, v35
	v_dual_mov_b32 v34, v2 :: v_dual_add_nc_u32 v25, 0x744, v1
	s_wait_alu 0xfffd
	v_add_co_ci_u32_e32 v14, vcc_lo, v38, v14, vcc_lo
	v_add_co_u32 v15, vcc_lo, v37, v15
	v_lshlrev_b64_e32 v[21:22], 2, v[21:22]
	v_add_nc_u32_e32 v27, 0x780, v1
	s_wait_alu 0xfffd
	v_add_co_ci_u32_e32 v16, vcc_lo, v38, v16, vcc_lo
	ds_load_2addr_b32 v[11:12], v0 offset0:24 offset1:84
	ds_load_2addr_b32 v[19:20], v0 offset0:144 offset1:204
	v_add_nc_u32_e32 v0, 0x1c00, v35
	v_add_co_u32 v17, vcc_lo, v37, v17
	v_lshlrev_b64_e32 v[25:26], 2, v[25:26]
	v_add_nc_u32_e32 v29, 0x7bc, v1
	s_wait_alu 0xfffd
	v_add_co_ci_u32_e32 v18, vcc_lo, v38, v18, vcc_lo
	v_add_co_u32 v21, vcc_lo, v37, v21
	v_lshlrev_b64_e32 v[27:28], 2, v[27:28]
	ds_load_2addr_b32 v[23:24], v0 offset0:8 offset1:68
	s_wait_alu 0xfffd
	v_add_co_ci_u32_e32 v22, vcc_lo, v38, v22, vcc_lo
	ds_load_2addr_b32 v[31:32], v0 offset0:128 offset1:188
	v_add_nc_u32_e32 v0, 0x1e00, v35
	v_add_co_u32 v25, vcc_lo, v37, v25
	v_lshlrev_b64_e32 v[29:30], 2, v[29:30]
	v_add_nc_u32_e32 v1, 0x834, v1
	s_wait_alu 0xfffd
	v_add_co_ci_u32_e32 v26, vcc_lo, v38, v26, vcc_lo
	v_add_co_u32 v27, vcc_lo, v37, v27
	v_lshlrev_b64_e32 v[33:34], 2, v[33:34]
	ds_load_2addr_b32 v[35:36], v0 offset0:120 offset1:180
	s_wait_alu 0xfffd
	v_add_co_ci_u32_e32 v28, vcc_lo, v38, v28, vcc_lo
	v_add_co_u32 v29, vcc_lo, v37, v29
	v_lshlrev_b64_e32 v[0:1], 2, v[1:2]
	s_wait_alu 0xfffd
	v_add_co_ci_u32_e32 v30, vcc_lo, v38, v30, vcc_lo
	v_add_co_u32 v33, vcc_lo, v37, v33
	s_wait_alu 0xfffd
	v_add_co_ci_u32_e32 v34, vcc_lo, v38, v34, vcc_lo
	v_add_co_u32 v0, vcc_lo, v37, v0
	s_wait_alu 0xfffd
	v_add_co_ci_u32_e32 v1, vcc_lo, v38, v1, vcc_lo
	s_wait_dscnt 0x5
	s_clause 0x1
	global_store_b32 v[3:4], v5, off
	global_store_b32 v[7:8], v6, off
	s_wait_dscnt 0x4
	s_clause 0x1
	global_store_b32 v[9:10], v11, off
	global_store_b32 v[13:14], v12, off
	;; [unrolled: 4-line block ×6, first 2 shown]
.LBB0_23:
	s_nop 0
	s_sendmsg sendmsg(MSG_DEALLOC_VGPRS)
	s_endpgm
	.section	.rodata,"a",@progbits
	.p2align	6, 0x0
	.amdhsa_kernel fft_rtc_fwd_len2160_factors_10_6_6_6_wgs_60_tpt_60_halfLds_half_op_CI_CI_unitstride_sbrr_C2R_dirReg
		.amdhsa_group_segment_fixed_size 0
		.amdhsa_private_segment_fixed_size 0
		.amdhsa_kernarg_size 104
		.amdhsa_user_sgpr_count 2
		.amdhsa_user_sgpr_dispatch_ptr 0
		.amdhsa_user_sgpr_queue_ptr 0
		.amdhsa_user_sgpr_kernarg_segment_ptr 1
		.amdhsa_user_sgpr_dispatch_id 0
		.amdhsa_user_sgpr_private_segment_size 0
		.amdhsa_wavefront_size32 1
		.amdhsa_uses_dynamic_stack 0
		.amdhsa_enable_private_segment 0
		.amdhsa_system_sgpr_workgroup_id_x 1
		.amdhsa_system_sgpr_workgroup_id_y 0
		.amdhsa_system_sgpr_workgroup_id_z 0
		.amdhsa_system_sgpr_workgroup_info 0
		.amdhsa_system_vgpr_workitem_id 0
		.amdhsa_next_free_vgpr 134
		.amdhsa_next_free_sgpr 39
		.amdhsa_reserve_vcc 1
		.amdhsa_float_round_mode_32 0
		.amdhsa_float_round_mode_16_64 0
		.amdhsa_float_denorm_mode_32 3
		.amdhsa_float_denorm_mode_16_64 3
		.amdhsa_fp16_overflow 0
		.amdhsa_workgroup_processor_mode 1
		.amdhsa_memory_ordered 1
		.amdhsa_forward_progress 0
		.amdhsa_round_robin_scheduling 0
		.amdhsa_exception_fp_ieee_invalid_op 0
		.amdhsa_exception_fp_denorm_src 0
		.amdhsa_exception_fp_ieee_div_zero 0
		.amdhsa_exception_fp_ieee_overflow 0
		.amdhsa_exception_fp_ieee_underflow 0
		.amdhsa_exception_fp_ieee_inexact 0
		.amdhsa_exception_int_div_zero 0
	.end_amdhsa_kernel
	.text
.Lfunc_end0:
	.size	fft_rtc_fwd_len2160_factors_10_6_6_6_wgs_60_tpt_60_halfLds_half_op_CI_CI_unitstride_sbrr_C2R_dirReg, .Lfunc_end0-fft_rtc_fwd_len2160_factors_10_6_6_6_wgs_60_tpt_60_halfLds_half_op_CI_CI_unitstride_sbrr_C2R_dirReg
                                        ; -- End function
	.section	.AMDGPU.csdata,"",@progbits
; Kernel info:
; codeLenInByte = 22600
; NumSgprs: 41
; NumVgprs: 134
; ScratchSize: 0
; MemoryBound: 0
; FloatMode: 240
; IeeeMode: 1
; LDSByteSize: 0 bytes/workgroup (compile time only)
; SGPRBlocks: 5
; VGPRBlocks: 16
; NumSGPRsForWavesPerEU: 41
; NumVGPRsForWavesPerEU: 134
; Occupancy: 10
; WaveLimiterHint : 1
; COMPUTE_PGM_RSRC2:SCRATCH_EN: 0
; COMPUTE_PGM_RSRC2:USER_SGPR: 2
; COMPUTE_PGM_RSRC2:TRAP_HANDLER: 0
; COMPUTE_PGM_RSRC2:TGID_X_EN: 1
; COMPUTE_PGM_RSRC2:TGID_Y_EN: 0
; COMPUTE_PGM_RSRC2:TGID_Z_EN: 0
; COMPUTE_PGM_RSRC2:TIDIG_COMP_CNT: 0
	.text
	.p2alignl 7, 3214868480
	.fill 96, 4, 3214868480
	.type	__hip_cuid_9fa5bdc4bb76dde6,@object ; @__hip_cuid_9fa5bdc4bb76dde6
	.section	.bss,"aw",@nobits
	.globl	__hip_cuid_9fa5bdc4bb76dde6
__hip_cuid_9fa5bdc4bb76dde6:
	.byte	0                               ; 0x0
	.size	__hip_cuid_9fa5bdc4bb76dde6, 1

	.ident	"AMD clang version 19.0.0git (https://github.com/RadeonOpenCompute/llvm-project roc-6.4.0 25133 c7fe45cf4b819c5991fe208aaa96edf142730f1d)"
	.section	".note.GNU-stack","",@progbits
	.addrsig
	.addrsig_sym __hip_cuid_9fa5bdc4bb76dde6
	.amdgpu_metadata
---
amdhsa.kernels:
  - .args:
      - .actual_access:  read_only
        .address_space:  global
        .offset:         0
        .size:           8
        .value_kind:     global_buffer
      - .offset:         8
        .size:           8
        .value_kind:     by_value
      - .actual_access:  read_only
        .address_space:  global
        .offset:         16
        .size:           8
        .value_kind:     global_buffer
      - .actual_access:  read_only
        .address_space:  global
        .offset:         24
        .size:           8
        .value_kind:     global_buffer
      - .actual_access:  read_only
        .address_space:  global
        .offset:         32
        .size:           8
        .value_kind:     global_buffer
      - .offset:         40
        .size:           8
        .value_kind:     by_value
      - .actual_access:  read_only
        .address_space:  global
        .offset:         48
        .size:           8
        .value_kind:     global_buffer
      - .actual_access:  read_only
        .address_space:  global
        .offset:         56
        .size:           8
        .value_kind:     global_buffer
      - .offset:         64
        .size:           4
        .value_kind:     by_value
      - .actual_access:  read_only
        .address_space:  global
        .offset:         72
        .size:           8
        .value_kind:     global_buffer
      - .actual_access:  read_only
        .address_space:  global
        .offset:         80
        .size:           8
        .value_kind:     global_buffer
      - .actual_access:  read_only
        .address_space:  global
        .offset:         88
        .size:           8
        .value_kind:     global_buffer
      - .actual_access:  write_only
        .address_space:  global
        .offset:         96
        .size:           8
        .value_kind:     global_buffer
    .group_segment_fixed_size: 0
    .kernarg_segment_align: 8
    .kernarg_segment_size: 104
    .language:       OpenCL C
    .language_version:
      - 2
      - 0
    .max_flat_workgroup_size: 60
    .name:           fft_rtc_fwd_len2160_factors_10_6_6_6_wgs_60_tpt_60_halfLds_half_op_CI_CI_unitstride_sbrr_C2R_dirReg
    .private_segment_fixed_size: 0
    .sgpr_count:     41
    .sgpr_spill_count: 0
    .symbol:         fft_rtc_fwd_len2160_factors_10_6_6_6_wgs_60_tpt_60_halfLds_half_op_CI_CI_unitstride_sbrr_C2R_dirReg.kd
    .uniform_work_group_size: 1
    .uses_dynamic_stack: false
    .vgpr_count:     134
    .vgpr_spill_count: 0
    .wavefront_size: 32
    .workgroup_processor_mode: 1
amdhsa.target:   amdgcn-amd-amdhsa--gfx1201
amdhsa.version:
  - 1
  - 2
...

	.end_amdgpu_metadata
